;; amdgpu-corpus repo=ROCm/rocSPARSE kind=compiled arch=gfx90a opt=O3
	.text
	.amdgcn_target "amdgcn-amd-amdhsa--gfx90a"
	.amdhsa_code_object_version 6
	.section	.text._ZN9rocsparseL12axpyi_kernelILj256Efi18rocsparse_bfloat16S1_EEvT1_NS_24const_host_device_scalarIT0_EEPKT2_PKS2_PT3_21rocsparse_index_base_b,"axG",@progbits,_ZN9rocsparseL12axpyi_kernelILj256Efi18rocsparse_bfloat16S1_EEvT1_NS_24const_host_device_scalarIT0_EEPKT2_PKS2_PT3_21rocsparse_index_base_b,comdat
	.globl	_ZN9rocsparseL12axpyi_kernelILj256Efi18rocsparse_bfloat16S1_EEvT1_NS_24const_host_device_scalarIT0_EEPKT2_PKS2_PT3_21rocsparse_index_base_b ; -- Begin function _ZN9rocsparseL12axpyi_kernelILj256Efi18rocsparse_bfloat16S1_EEvT1_NS_24const_host_device_scalarIT0_EEPKT2_PKS2_PT3_21rocsparse_index_base_b
	.p2align	8
	.type	_ZN9rocsparseL12axpyi_kernelILj256Efi18rocsparse_bfloat16S1_EEvT1_NS_24const_host_device_scalarIT0_EEPKT2_PKS2_PT3_21rocsparse_index_base_b,@function
_ZN9rocsparseL12axpyi_kernelILj256Efi18rocsparse_bfloat16S1_EEvT1_NS_24const_host_device_scalarIT0_EEPKT2_PKS2_PT3_21rocsparse_index_base_b: ; @_ZN9rocsparseL12axpyi_kernelILj256Efi18rocsparse_bfloat16S1_EEvT1_NS_24const_host_device_scalarIT0_EEPKT2_PKS2_PT3_21rocsparse_index_base_b
; %bb.0:
	s_endpgm
	.section	.rodata,"a",@progbits
	.p2align	6, 0x0
	.amdhsa_kernel _ZN9rocsparseL12axpyi_kernelILj256Efi18rocsparse_bfloat16S1_EEvT1_NS_24const_host_device_scalarIT0_EEPKT2_PKS2_PT3_21rocsparse_index_base_b
		.amdhsa_group_segment_fixed_size 0
		.amdhsa_private_segment_fixed_size 0
		.amdhsa_kernarg_size 48
		.amdhsa_user_sgpr_count 6
		.amdhsa_user_sgpr_private_segment_buffer 1
		.amdhsa_user_sgpr_dispatch_ptr 0
		.amdhsa_user_sgpr_queue_ptr 0
		.amdhsa_user_sgpr_kernarg_segment_ptr 1
		.amdhsa_user_sgpr_dispatch_id 0
		.amdhsa_user_sgpr_flat_scratch_init 0
		.amdhsa_user_sgpr_kernarg_preload_length 0
		.amdhsa_user_sgpr_kernarg_preload_offset 0
		.amdhsa_user_sgpr_private_segment_size 0
		.amdhsa_uses_dynamic_stack 0
		.amdhsa_system_sgpr_private_segment_wavefront_offset 0
		.amdhsa_system_sgpr_workgroup_id_x 1
		.amdhsa_system_sgpr_workgroup_id_y 0
		.amdhsa_system_sgpr_workgroup_id_z 0
		.amdhsa_system_sgpr_workgroup_info 0
		.amdhsa_system_vgpr_workitem_id 0
		.amdhsa_next_free_vgpr 1
		.amdhsa_next_free_sgpr 0
		.amdhsa_accum_offset 4
		.amdhsa_reserve_vcc 0
		.amdhsa_reserve_flat_scratch 0
		.amdhsa_float_round_mode_32 0
		.amdhsa_float_round_mode_16_64 0
		.amdhsa_float_denorm_mode_32 3
		.amdhsa_float_denorm_mode_16_64 3
		.amdhsa_dx10_clamp 1
		.amdhsa_ieee_mode 1
		.amdhsa_fp16_overflow 0
		.amdhsa_tg_split 0
		.amdhsa_exception_fp_ieee_invalid_op 0
		.amdhsa_exception_fp_denorm_src 0
		.amdhsa_exception_fp_ieee_div_zero 0
		.amdhsa_exception_fp_ieee_overflow 0
		.amdhsa_exception_fp_ieee_underflow 0
		.amdhsa_exception_fp_ieee_inexact 0
		.amdhsa_exception_int_div_zero 0
	.end_amdhsa_kernel
	.section	.text._ZN9rocsparseL12axpyi_kernelILj256Efi18rocsparse_bfloat16S1_EEvT1_NS_24const_host_device_scalarIT0_EEPKT2_PKS2_PT3_21rocsparse_index_base_b,"axG",@progbits,_ZN9rocsparseL12axpyi_kernelILj256Efi18rocsparse_bfloat16S1_EEvT1_NS_24const_host_device_scalarIT0_EEPKT2_PKS2_PT3_21rocsparse_index_base_b,comdat
.Lfunc_end0:
	.size	_ZN9rocsparseL12axpyi_kernelILj256Efi18rocsparse_bfloat16S1_EEvT1_NS_24const_host_device_scalarIT0_EEPKT2_PKS2_PT3_21rocsparse_index_base_b, .Lfunc_end0-_ZN9rocsparseL12axpyi_kernelILj256Efi18rocsparse_bfloat16S1_EEvT1_NS_24const_host_device_scalarIT0_EEPKT2_PKS2_PT3_21rocsparse_index_base_b
                                        ; -- End function
	.section	.AMDGPU.csdata,"",@progbits
; Kernel info:
; codeLenInByte = 4
; NumSgprs: 4
; NumVgprs: 0
; NumAgprs: 0
; TotalNumVgprs: 0
; ScratchSize: 0
; MemoryBound: 0
; FloatMode: 240
; IeeeMode: 1
; LDSByteSize: 0 bytes/workgroup (compile time only)
; SGPRBlocks: 0
; VGPRBlocks: 0
; NumSGPRsForWavesPerEU: 4
; NumVGPRsForWavesPerEU: 1
; AccumOffset: 4
; Occupancy: 8
; WaveLimiterHint : 0
; COMPUTE_PGM_RSRC2:SCRATCH_EN: 0
; COMPUTE_PGM_RSRC2:USER_SGPR: 6
; COMPUTE_PGM_RSRC2:TRAP_HANDLER: 0
; COMPUTE_PGM_RSRC2:TGID_X_EN: 1
; COMPUTE_PGM_RSRC2:TGID_Y_EN: 0
; COMPUTE_PGM_RSRC2:TGID_Z_EN: 0
; COMPUTE_PGM_RSRC2:TIDIG_COMP_CNT: 0
; COMPUTE_PGM_RSRC3_GFX90A:ACCUM_OFFSET: 0
; COMPUTE_PGM_RSRC3_GFX90A:TG_SPLIT: 0
	.section	.text._ZN9rocsparseL12axpyi_kernelILj256EfiDF16_DF16_EEvT1_NS_24const_host_device_scalarIT0_EEPKT2_PKS1_PT3_21rocsparse_index_base_b,"axG",@progbits,_ZN9rocsparseL12axpyi_kernelILj256EfiDF16_DF16_EEvT1_NS_24const_host_device_scalarIT0_EEPKT2_PKS1_PT3_21rocsparse_index_base_b,comdat
	.globl	_ZN9rocsparseL12axpyi_kernelILj256EfiDF16_DF16_EEvT1_NS_24const_host_device_scalarIT0_EEPKT2_PKS1_PT3_21rocsparse_index_base_b ; -- Begin function _ZN9rocsparseL12axpyi_kernelILj256EfiDF16_DF16_EEvT1_NS_24const_host_device_scalarIT0_EEPKT2_PKS1_PT3_21rocsparse_index_base_b
	.p2align	8
	.type	_ZN9rocsparseL12axpyi_kernelILj256EfiDF16_DF16_EEvT1_NS_24const_host_device_scalarIT0_EEPKT2_PKS1_PT3_21rocsparse_index_base_b,@function
_ZN9rocsparseL12axpyi_kernelILj256EfiDF16_DF16_EEvT1_NS_24const_host_device_scalarIT0_EEPKT2_PKS1_PT3_21rocsparse_index_base_b: ; @_ZN9rocsparseL12axpyi_kernelILj256EfiDF16_DF16_EEvT1_NS_24const_host_device_scalarIT0_EEPKT2_PKS1_PT3_21rocsparse_index_base_b
; %bb.0:
	s_load_dwordx2 s[2:3], s[4:5], 0x28
	s_load_dwordx2 s[0:1], s[4:5], 0x8
	s_waitcnt lgkmcnt(0)
	s_bitcmp1_b32 s3, 0
	s_cselect_b64 s[8:9], -1, 0
	s_and_b64 vcc, exec, s[8:9]
	s_cbranch_vccnz .LBB1_2
; %bb.1:
	s_load_dword s0, s[0:1], 0x0
.LBB1_2:
	s_nop 0
	s_load_dword s1, s[4:5], 0x0
	v_lshl_or_b32 v0, s6, 8, v0
	s_waitcnt lgkmcnt(0)
	v_cmp_neq_f32_e64 s[8:9], s0, 0
	v_cmp_gt_i32_e32 vcc, s1, v0
	s_and_b64 s[6:7], s[8:9], vcc
	s_and_saveexec_b64 s[8:9], s[6:7]
	s_cbranch_execz .LBB1_4
; %bb.3:
	s_load_dwordx4 s[8:11], s[4:5], 0x10
	s_load_dwordx2 s[6:7], s[4:5], 0x20
	v_ashrrev_i32_e32 v1, 31, v0
	v_lshlrev_b64 v[2:3], 2, v[0:1]
	v_lshlrev_b64 v[0:1], 1, v[0:1]
	s_waitcnt lgkmcnt(0)
	v_mov_b32_e32 v4, s11
	v_add_co_u32_e32 v2, vcc, s10, v2
	v_addc_co_u32_e32 v3, vcc, v4, v3, vcc
	global_load_dword v2, v[2:3], off
	v_mov_b32_e32 v3, s9
	v_add_co_u32_e32 v0, vcc, s8, v0
	v_addc_co_u32_e32 v1, vcc, v3, v1, vcc
	global_load_ushort v3, v[0:1], off
	v_mov_b32_e32 v4, s7
	s_waitcnt vmcnt(1)
	v_subrev_u32_e32 v0, s2, v2
	v_ashrrev_i32_e32 v1, 31, v0
	v_lshlrev_b64 v[0:1], 1, v[0:1]
	v_add_co_u32_e32 v0, vcc, s6, v0
	v_addc_co_u32_e32 v1, vcc, v4, v1, vcc
	global_load_ushort v2, v[0:1], off
	s_waitcnt vmcnt(0)
	v_fma_mixlo_f16 v2, s0, v3, v2 op_sel_hi:[0,1,1]
	global_store_short v[0:1], v2, off
.LBB1_4:
	s_endpgm
	.section	.rodata,"a",@progbits
	.p2align	6, 0x0
	.amdhsa_kernel _ZN9rocsparseL12axpyi_kernelILj256EfiDF16_DF16_EEvT1_NS_24const_host_device_scalarIT0_EEPKT2_PKS1_PT3_21rocsparse_index_base_b
		.amdhsa_group_segment_fixed_size 0
		.amdhsa_private_segment_fixed_size 0
		.amdhsa_kernarg_size 48
		.amdhsa_user_sgpr_count 6
		.amdhsa_user_sgpr_private_segment_buffer 1
		.amdhsa_user_sgpr_dispatch_ptr 0
		.amdhsa_user_sgpr_queue_ptr 0
		.amdhsa_user_sgpr_kernarg_segment_ptr 1
		.amdhsa_user_sgpr_dispatch_id 0
		.amdhsa_user_sgpr_flat_scratch_init 0
		.amdhsa_user_sgpr_kernarg_preload_length 0
		.amdhsa_user_sgpr_kernarg_preload_offset 0
		.amdhsa_user_sgpr_private_segment_size 0
		.amdhsa_uses_dynamic_stack 0
		.amdhsa_system_sgpr_private_segment_wavefront_offset 0
		.amdhsa_system_sgpr_workgroup_id_x 1
		.amdhsa_system_sgpr_workgroup_id_y 0
		.amdhsa_system_sgpr_workgroup_id_z 0
		.amdhsa_system_sgpr_workgroup_info 0
		.amdhsa_system_vgpr_workitem_id 0
		.amdhsa_next_free_vgpr 5
		.amdhsa_next_free_sgpr 12
		.amdhsa_accum_offset 8
		.amdhsa_reserve_vcc 1
		.amdhsa_reserve_flat_scratch 0
		.amdhsa_float_round_mode_32 0
		.amdhsa_float_round_mode_16_64 0
		.amdhsa_float_denorm_mode_32 3
		.amdhsa_float_denorm_mode_16_64 3
		.amdhsa_dx10_clamp 1
		.amdhsa_ieee_mode 1
		.amdhsa_fp16_overflow 0
		.amdhsa_tg_split 0
		.amdhsa_exception_fp_ieee_invalid_op 0
		.amdhsa_exception_fp_denorm_src 0
		.amdhsa_exception_fp_ieee_div_zero 0
		.amdhsa_exception_fp_ieee_overflow 0
		.amdhsa_exception_fp_ieee_underflow 0
		.amdhsa_exception_fp_ieee_inexact 0
		.amdhsa_exception_int_div_zero 0
	.end_amdhsa_kernel
	.section	.text._ZN9rocsparseL12axpyi_kernelILj256EfiDF16_DF16_EEvT1_NS_24const_host_device_scalarIT0_EEPKT2_PKS1_PT3_21rocsparse_index_base_b,"axG",@progbits,_ZN9rocsparseL12axpyi_kernelILj256EfiDF16_DF16_EEvT1_NS_24const_host_device_scalarIT0_EEPKT2_PKS1_PT3_21rocsparse_index_base_b,comdat
.Lfunc_end1:
	.size	_ZN9rocsparseL12axpyi_kernelILj256EfiDF16_DF16_EEvT1_NS_24const_host_device_scalarIT0_EEPKT2_PKS1_PT3_21rocsparse_index_base_b, .Lfunc_end1-_ZN9rocsparseL12axpyi_kernelILj256EfiDF16_DF16_EEvT1_NS_24const_host_device_scalarIT0_EEPKT2_PKS1_PT3_21rocsparse_index_base_b
                                        ; -- End function
	.section	.AMDGPU.csdata,"",@progbits
; Kernel info:
; codeLenInByte = 236
; NumSgprs: 16
; NumVgprs: 5
; NumAgprs: 0
; TotalNumVgprs: 5
; ScratchSize: 0
; MemoryBound: 0
; FloatMode: 240
; IeeeMode: 1
; LDSByteSize: 0 bytes/workgroup (compile time only)
; SGPRBlocks: 1
; VGPRBlocks: 0
; NumSGPRsForWavesPerEU: 16
; NumVGPRsForWavesPerEU: 5
; AccumOffset: 8
; Occupancy: 8
; WaveLimiterHint : 1
; COMPUTE_PGM_RSRC2:SCRATCH_EN: 0
; COMPUTE_PGM_RSRC2:USER_SGPR: 6
; COMPUTE_PGM_RSRC2:TRAP_HANDLER: 0
; COMPUTE_PGM_RSRC2:TGID_X_EN: 1
; COMPUTE_PGM_RSRC2:TGID_Y_EN: 0
; COMPUTE_PGM_RSRC2:TGID_Z_EN: 0
; COMPUTE_PGM_RSRC2:TIDIG_COMP_CNT: 0
; COMPUTE_PGM_RSRC3_GFX90A:ACCUM_OFFSET: 1
; COMPUTE_PGM_RSRC3_GFX90A:TG_SPLIT: 0
	.section	.text._ZN9rocsparseL12axpyi_kernelILj256EfiffEEvT1_NS_24const_host_device_scalarIT0_EEPKT2_PKS1_PT3_21rocsparse_index_base_b,"axG",@progbits,_ZN9rocsparseL12axpyi_kernelILj256EfiffEEvT1_NS_24const_host_device_scalarIT0_EEPKT2_PKS1_PT3_21rocsparse_index_base_b,comdat
	.globl	_ZN9rocsparseL12axpyi_kernelILj256EfiffEEvT1_NS_24const_host_device_scalarIT0_EEPKT2_PKS1_PT3_21rocsparse_index_base_b ; -- Begin function _ZN9rocsparseL12axpyi_kernelILj256EfiffEEvT1_NS_24const_host_device_scalarIT0_EEPKT2_PKS1_PT3_21rocsparse_index_base_b
	.p2align	8
	.type	_ZN9rocsparseL12axpyi_kernelILj256EfiffEEvT1_NS_24const_host_device_scalarIT0_EEPKT2_PKS1_PT3_21rocsparse_index_base_b,@function
_ZN9rocsparseL12axpyi_kernelILj256EfiffEEvT1_NS_24const_host_device_scalarIT0_EEPKT2_PKS1_PT3_21rocsparse_index_base_b: ; @_ZN9rocsparseL12axpyi_kernelILj256EfiffEEvT1_NS_24const_host_device_scalarIT0_EEPKT2_PKS1_PT3_21rocsparse_index_base_b
; %bb.0:
	s_load_dwordx2 s[2:3], s[4:5], 0x28
	s_load_dwordx2 s[0:1], s[4:5], 0x8
	s_waitcnt lgkmcnt(0)
	s_bitcmp1_b32 s3, 0
	s_cselect_b64 s[8:9], -1, 0
	s_and_b64 vcc, exec, s[8:9]
	s_cbranch_vccnz .LBB2_2
; %bb.1:
	s_load_dword s0, s[0:1], 0x0
.LBB2_2:
	s_nop 0
	s_load_dword s1, s[4:5], 0x0
	v_lshl_or_b32 v0, s6, 8, v0
	s_waitcnt lgkmcnt(0)
	v_cmp_neq_f32_e64 s[8:9], s0, 0
	v_cmp_gt_i32_e32 vcc, s1, v0
	s_and_b64 s[6:7], s[8:9], vcc
	s_and_saveexec_b64 s[8:9], s[6:7]
	s_cbranch_execz .LBB2_4
; %bb.3:
	s_load_dwordx4 s[8:11], s[4:5], 0x10
	s_load_dwordx2 s[6:7], s[4:5], 0x20
	v_ashrrev_i32_e32 v1, 31, v0
	v_lshlrev_b64 v[0:1], 2, v[0:1]
	s_waitcnt lgkmcnt(0)
	v_mov_b32_e32 v3, s11
	v_add_co_u32_e32 v2, vcc, s10, v0
	v_addc_co_u32_e32 v3, vcc, v3, v1, vcc
	global_load_dword v2, v[2:3], off
	v_mov_b32_e32 v3, s9
	v_add_co_u32_e32 v0, vcc, s8, v0
	v_addc_co_u32_e32 v1, vcc, v3, v1, vcc
	global_load_dword v3, v[0:1], off
	v_mov_b32_e32 v4, s7
	s_waitcnt vmcnt(1)
	v_subrev_u32_e32 v0, s2, v2
	v_ashrrev_i32_e32 v1, 31, v0
	v_lshlrev_b64 v[0:1], 2, v[0:1]
	v_add_co_u32_e32 v0, vcc, s6, v0
	v_addc_co_u32_e32 v1, vcc, v4, v1, vcc
	global_load_dword v2, v[0:1], off
	s_waitcnt vmcnt(0)
	v_fmac_f32_e32 v2, s0, v3
	global_store_dword v[0:1], v2, off
.LBB2_4:
	s_endpgm
	.section	.rodata,"a",@progbits
	.p2align	6, 0x0
	.amdhsa_kernel _ZN9rocsparseL12axpyi_kernelILj256EfiffEEvT1_NS_24const_host_device_scalarIT0_EEPKT2_PKS1_PT3_21rocsparse_index_base_b
		.amdhsa_group_segment_fixed_size 0
		.amdhsa_private_segment_fixed_size 0
		.amdhsa_kernarg_size 48
		.amdhsa_user_sgpr_count 6
		.amdhsa_user_sgpr_private_segment_buffer 1
		.amdhsa_user_sgpr_dispatch_ptr 0
		.amdhsa_user_sgpr_queue_ptr 0
		.amdhsa_user_sgpr_kernarg_segment_ptr 1
		.amdhsa_user_sgpr_dispatch_id 0
		.amdhsa_user_sgpr_flat_scratch_init 0
		.amdhsa_user_sgpr_kernarg_preload_length 0
		.amdhsa_user_sgpr_kernarg_preload_offset 0
		.amdhsa_user_sgpr_private_segment_size 0
		.amdhsa_uses_dynamic_stack 0
		.amdhsa_system_sgpr_private_segment_wavefront_offset 0
		.amdhsa_system_sgpr_workgroup_id_x 1
		.amdhsa_system_sgpr_workgroup_id_y 0
		.amdhsa_system_sgpr_workgroup_id_z 0
		.amdhsa_system_sgpr_workgroup_info 0
		.amdhsa_system_vgpr_workitem_id 0
		.amdhsa_next_free_vgpr 5
		.amdhsa_next_free_sgpr 12
		.amdhsa_accum_offset 8
		.amdhsa_reserve_vcc 1
		.amdhsa_reserve_flat_scratch 0
		.amdhsa_float_round_mode_32 0
		.amdhsa_float_round_mode_16_64 0
		.amdhsa_float_denorm_mode_32 3
		.amdhsa_float_denorm_mode_16_64 3
		.amdhsa_dx10_clamp 1
		.amdhsa_ieee_mode 1
		.amdhsa_fp16_overflow 0
		.amdhsa_tg_split 0
		.amdhsa_exception_fp_ieee_invalid_op 0
		.amdhsa_exception_fp_denorm_src 0
		.amdhsa_exception_fp_ieee_div_zero 0
		.amdhsa_exception_fp_ieee_overflow 0
		.amdhsa_exception_fp_ieee_underflow 0
		.amdhsa_exception_fp_ieee_inexact 0
		.amdhsa_exception_int_div_zero 0
	.end_amdhsa_kernel
	.section	.text._ZN9rocsparseL12axpyi_kernelILj256EfiffEEvT1_NS_24const_host_device_scalarIT0_EEPKT2_PKS1_PT3_21rocsparse_index_base_b,"axG",@progbits,_ZN9rocsparseL12axpyi_kernelILj256EfiffEEvT1_NS_24const_host_device_scalarIT0_EEPKT2_PKS1_PT3_21rocsparse_index_base_b,comdat
.Lfunc_end2:
	.size	_ZN9rocsparseL12axpyi_kernelILj256EfiffEEvT1_NS_24const_host_device_scalarIT0_EEPKT2_PKS1_PT3_21rocsparse_index_base_b, .Lfunc_end2-_ZN9rocsparseL12axpyi_kernelILj256EfiffEEvT1_NS_24const_host_device_scalarIT0_EEPKT2_PKS1_PT3_21rocsparse_index_base_b
                                        ; -- End function
	.section	.AMDGPU.csdata,"",@progbits
; Kernel info:
; codeLenInByte = 224
; NumSgprs: 16
; NumVgprs: 5
; NumAgprs: 0
; TotalNumVgprs: 5
; ScratchSize: 0
; MemoryBound: 0
; FloatMode: 240
; IeeeMode: 1
; LDSByteSize: 0 bytes/workgroup (compile time only)
; SGPRBlocks: 1
; VGPRBlocks: 0
; NumSGPRsForWavesPerEU: 16
; NumVGPRsForWavesPerEU: 5
; AccumOffset: 8
; Occupancy: 8
; WaveLimiterHint : 1
; COMPUTE_PGM_RSRC2:SCRATCH_EN: 0
; COMPUTE_PGM_RSRC2:USER_SGPR: 6
; COMPUTE_PGM_RSRC2:TRAP_HANDLER: 0
; COMPUTE_PGM_RSRC2:TGID_X_EN: 1
; COMPUTE_PGM_RSRC2:TGID_Y_EN: 0
; COMPUTE_PGM_RSRC2:TGID_Z_EN: 0
; COMPUTE_PGM_RSRC2:TIDIG_COMP_CNT: 0
; COMPUTE_PGM_RSRC3_GFX90A:ACCUM_OFFSET: 1
; COMPUTE_PGM_RSRC3_GFX90A:TG_SPLIT: 0
	.section	.text._ZN9rocsparseL12axpyi_kernelILj256EdiddEEvT1_NS_24const_host_device_scalarIT0_EEPKT2_PKS1_PT3_21rocsparse_index_base_b,"axG",@progbits,_ZN9rocsparseL12axpyi_kernelILj256EdiddEEvT1_NS_24const_host_device_scalarIT0_EEPKT2_PKS1_PT3_21rocsparse_index_base_b,comdat
	.globl	_ZN9rocsparseL12axpyi_kernelILj256EdiddEEvT1_NS_24const_host_device_scalarIT0_EEPKT2_PKS1_PT3_21rocsparse_index_base_b ; -- Begin function _ZN9rocsparseL12axpyi_kernelILj256EdiddEEvT1_NS_24const_host_device_scalarIT0_EEPKT2_PKS1_PT3_21rocsparse_index_base_b
	.p2align	8
	.type	_ZN9rocsparseL12axpyi_kernelILj256EdiddEEvT1_NS_24const_host_device_scalarIT0_EEPKT2_PKS1_PT3_21rocsparse_index_base_b,@function
_ZN9rocsparseL12axpyi_kernelILj256EdiddEEvT1_NS_24const_host_device_scalarIT0_EEPKT2_PKS1_PT3_21rocsparse_index_base_b: ; @_ZN9rocsparseL12axpyi_kernelILj256EdiddEEvT1_NS_24const_host_device_scalarIT0_EEPKT2_PKS1_PT3_21rocsparse_index_base_b
; %bb.0:
	s_load_dwordx2 s[2:3], s[4:5], 0x28
	s_load_dwordx2 s[0:1], s[4:5], 0x8
	s_waitcnt lgkmcnt(0)
	s_bitcmp1_b32 s3, 0
	s_cselect_b64 s[8:9], -1, 0
	s_and_b64 vcc, exec, s[8:9]
	v_pk_mov_b32 v[2:3], s[0:1], s[0:1] op_sel:[0,1]
	s_cbranch_vccnz .LBB3_2
; %bb.1:
	v_pk_mov_b32 v[2:3], s[0:1], s[0:1] op_sel:[0,1]
	flat_load_dwordx2 v[2:3], v[2:3]
.LBB3_2:
	s_load_dword s0, s[4:5], 0x0
	v_lshl_or_b32 v0, s6, 8, v0
	s_waitcnt vmcnt(0) lgkmcnt(0)
	v_cmp_neq_f64_e32 vcc, 0, v[2:3]
	v_cmp_gt_i32_e64 s[0:1], s0, v0
	s_and_b64 s[0:1], vcc, s[0:1]
	s_and_saveexec_b64 s[6:7], s[0:1]
	s_cbranch_execz .LBB3_4
; %bb.3:
	s_load_dwordx4 s[8:11], s[4:5], 0x10
	s_load_dwordx2 s[0:1], s[4:5], 0x20
	v_ashrrev_i32_e32 v1, 31, v0
	v_lshlrev_b64 v[4:5], 2, v[0:1]
	v_lshlrev_b64 v[0:1], 3, v[0:1]
	s_waitcnt lgkmcnt(0)
	v_mov_b32_e32 v6, s11
	v_add_co_u32_e32 v4, vcc, s10, v4
	v_addc_co_u32_e32 v5, vcc, v6, v5, vcc
	global_load_dword v4, v[4:5], off
	v_mov_b32_e32 v5, s9
	v_add_co_u32_e32 v0, vcc, s8, v0
	v_addc_co_u32_e32 v1, vcc, v5, v1, vcc
	v_mov_b32_e32 v6, s1
	global_load_dwordx2 v[0:1], v[0:1], off
	s_waitcnt vmcnt(1)
	v_subrev_u32_e32 v4, s2, v4
	v_ashrrev_i32_e32 v5, 31, v4
	v_lshlrev_b64 v[4:5], 3, v[4:5]
	v_add_co_u32_e32 v4, vcc, s0, v4
	v_addc_co_u32_e32 v5, vcc, v6, v5, vcc
	global_load_dwordx2 v[6:7], v[4:5], off
	s_waitcnt vmcnt(0)
	v_fmac_f64_e32 v[6:7], v[2:3], v[0:1]
	global_store_dwordx2 v[4:5], v[6:7], off
.LBB3_4:
	s_endpgm
	.section	.rodata,"a",@progbits
	.p2align	6, 0x0
	.amdhsa_kernel _ZN9rocsparseL12axpyi_kernelILj256EdiddEEvT1_NS_24const_host_device_scalarIT0_EEPKT2_PKS1_PT3_21rocsparse_index_base_b
		.amdhsa_group_segment_fixed_size 0
		.amdhsa_private_segment_fixed_size 0
		.amdhsa_kernarg_size 48
		.amdhsa_user_sgpr_count 6
		.amdhsa_user_sgpr_private_segment_buffer 1
		.amdhsa_user_sgpr_dispatch_ptr 0
		.amdhsa_user_sgpr_queue_ptr 0
		.amdhsa_user_sgpr_kernarg_segment_ptr 1
		.amdhsa_user_sgpr_dispatch_id 0
		.amdhsa_user_sgpr_flat_scratch_init 0
		.amdhsa_user_sgpr_kernarg_preload_length 0
		.amdhsa_user_sgpr_kernarg_preload_offset 0
		.amdhsa_user_sgpr_private_segment_size 0
		.amdhsa_uses_dynamic_stack 0
		.amdhsa_system_sgpr_private_segment_wavefront_offset 0
		.amdhsa_system_sgpr_workgroup_id_x 1
		.amdhsa_system_sgpr_workgroup_id_y 0
		.amdhsa_system_sgpr_workgroup_id_z 0
		.amdhsa_system_sgpr_workgroup_info 0
		.amdhsa_system_vgpr_workitem_id 0
		.amdhsa_next_free_vgpr 8
		.amdhsa_next_free_sgpr 12
		.amdhsa_accum_offset 8
		.amdhsa_reserve_vcc 1
		.amdhsa_reserve_flat_scratch 0
		.amdhsa_float_round_mode_32 0
		.amdhsa_float_round_mode_16_64 0
		.amdhsa_float_denorm_mode_32 3
		.amdhsa_float_denorm_mode_16_64 3
		.amdhsa_dx10_clamp 1
		.amdhsa_ieee_mode 1
		.amdhsa_fp16_overflow 0
		.amdhsa_tg_split 0
		.amdhsa_exception_fp_ieee_invalid_op 0
		.amdhsa_exception_fp_denorm_src 0
		.amdhsa_exception_fp_ieee_div_zero 0
		.amdhsa_exception_fp_ieee_overflow 0
		.amdhsa_exception_fp_ieee_underflow 0
		.amdhsa_exception_fp_ieee_inexact 0
		.amdhsa_exception_int_div_zero 0
	.end_amdhsa_kernel
	.section	.text._ZN9rocsparseL12axpyi_kernelILj256EdiddEEvT1_NS_24const_host_device_scalarIT0_EEPKT2_PKS1_PT3_21rocsparse_index_base_b,"axG",@progbits,_ZN9rocsparseL12axpyi_kernelILj256EdiddEEvT1_NS_24const_host_device_scalarIT0_EEPKT2_PKS1_PT3_21rocsparse_index_base_b,comdat
.Lfunc_end3:
	.size	_ZN9rocsparseL12axpyi_kernelILj256EdiddEEvT1_NS_24const_host_device_scalarIT0_EEPKT2_PKS1_PT3_21rocsparse_index_base_b, .Lfunc_end3-_ZN9rocsparseL12axpyi_kernelILj256EdiddEEvT1_NS_24const_host_device_scalarIT0_EEPKT2_PKS1_PT3_21rocsparse_index_base_b
                                        ; -- End function
	.section	.AMDGPU.csdata,"",@progbits
; Kernel info:
; codeLenInByte = 244
; NumSgprs: 16
; NumVgprs: 8
; NumAgprs: 0
; TotalNumVgprs: 8
; ScratchSize: 0
; MemoryBound: 0
; FloatMode: 240
; IeeeMode: 1
; LDSByteSize: 0 bytes/workgroup (compile time only)
; SGPRBlocks: 1
; VGPRBlocks: 0
; NumSGPRsForWavesPerEU: 16
; NumVGPRsForWavesPerEU: 8
; AccumOffset: 8
; Occupancy: 8
; WaveLimiterHint : 1
; COMPUTE_PGM_RSRC2:SCRATCH_EN: 0
; COMPUTE_PGM_RSRC2:USER_SGPR: 6
; COMPUTE_PGM_RSRC2:TRAP_HANDLER: 0
; COMPUTE_PGM_RSRC2:TGID_X_EN: 1
; COMPUTE_PGM_RSRC2:TGID_Y_EN: 0
; COMPUTE_PGM_RSRC2:TGID_Z_EN: 0
; COMPUTE_PGM_RSRC2:TIDIG_COMP_CNT: 0
; COMPUTE_PGM_RSRC3_GFX90A:ACCUM_OFFSET: 1
; COMPUTE_PGM_RSRC3_GFX90A:TG_SPLIT: 0
	.section	.text._ZN9rocsparseL12axpyi_kernelILj256E21rocsparse_complex_numIfEiS2_S2_EEvT1_NS_24const_host_device_scalarIT0_EEPKT2_PKS3_PT3_21rocsparse_index_base_b,"axG",@progbits,_ZN9rocsparseL12axpyi_kernelILj256E21rocsparse_complex_numIfEiS2_S2_EEvT1_NS_24const_host_device_scalarIT0_EEPKT2_PKS3_PT3_21rocsparse_index_base_b,comdat
	.globl	_ZN9rocsparseL12axpyi_kernelILj256E21rocsparse_complex_numIfEiS2_S2_EEvT1_NS_24const_host_device_scalarIT0_EEPKT2_PKS3_PT3_21rocsparse_index_base_b ; -- Begin function _ZN9rocsparseL12axpyi_kernelILj256E21rocsparse_complex_numIfEiS2_S2_EEvT1_NS_24const_host_device_scalarIT0_EEPKT2_PKS3_PT3_21rocsparse_index_base_b
	.p2align	8
	.type	_ZN9rocsparseL12axpyi_kernelILj256E21rocsparse_complex_numIfEiS2_S2_EEvT1_NS_24const_host_device_scalarIT0_EEPKT2_PKS3_PT3_21rocsparse_index_base_b,@function
_ZN9rocsparseL12axpyi_kernelILj256E21rocsparse_complex_numIfEiS2_S2_EEvT1_NS_24const_host_device_scalarIT0_EEPKT2_PKS3_PT3_21rocsparse_index_base_b: ; @_ZN9rocsparseL12axpyi_kernelILj256E21rocsparse_complex_numIfEiS2_S2_EEvT1_NS_24const_host_device_scalarIT0_EEPKT2_PKS3_PT3_21rocsparse_index_base_b
; %bb.0:
	s_load_dwordx2 s[2:3], s[4:5], 0x28
	s_load_dwordx2 s[0:1], s[4:5], 0x8
	s_waitcnt lgkmcnt(0)
	s_bitcmp1_b32 s3, 0
	s_cselect_b64 s[10:11], -1, 0
	s_xor_b64 s[8:9], s[10:11], -1
	s_and_b64 vcc, exec, s[10:11]
	v_mov_b32_e32 v2, s0
	s_cbranch_vccnz .LBB4_2
; %bb.1:
	v_pk_mov_b32 v[2:3], s[0:1], s[0:1] op_sel:[0,1]
	flat_load_dword v2, v[2:3]
.LBB4_2:
	s_andn2_b64 vcc, exec, s[8:9]
	v_mov_b32_e32 v3, s1
	s_cbranch_vccnz .LBB4_4
; %bb.3:
	v_pk_mov_b32 v[4:5], s[0:1], s[0:1] op_sel:[0,1]
	flat_load_dword v3, v[4:5] offset:4
.LBB4_4:
	s_load_dword s3, s[4:5], 0x0
	s_waitcnt vmcnt(0) lgkmcnt(0)
	v_cmp_neq_f32_e32 vcc, 0, v2
	v_cmp_neq_f32_e64 s[0:1], 0, v3
	v_lshl_or_b32 v0, s6, 8, v0
	s_or_b64 s[0:1], vcc, s[0:1]
	v_cmp_gt_i32_e32 vcc, s3, v0
	s_and_b64 s[0:1], s[0:1], vcc
	s_and_saveexec_b64 s[6:7], s[0:1]
	s_cbranch_execz .LBB4_6
; %bb.5:
	s_load_dwordx4 s[8:11], s[4:5], 0x10
	s_load_dwordx2 s[0:1], s[4:5], 0x20
	v_ashrrev_i32_e32 v1, 31, v0
	v_lshlrev_b64 v[4:5], 2, v[0:1]
	v_lshlrev_b64 v[0:1], 3, v[0:1]
	s_waitcnt lgkmcnt(0)
	v_mov_b32_e32 v6, s11
	v_add_co_u32_e32 v4, vcc, s10, v4
	v_addc_co_u32_e32 v5, vcc, v6, v5, vcc
	global_load_dword v4, v[4:5], off
	v_mov_b32_e32 v5, s9
	v_add_co_u32_e32 v0, vcc, s8, v0
	v_addc_co_u32_e32 v1, vcc, v5, v1, vcc
	v_mov_b32_e32 v6, s1
	global_load_dwordx2 v[0:1], v[0:1], off
	v_xor_b32_e32 v8, 0x80000000, v3
	v_mov_b32_e32 v9, v2
	s_waitcnt vmcnt(1)
	v_subrev_u32_e32 v4, s2, v4
	v_ashrrev_i32_e32 v5, 31, v4
	v_lshlrev_b64 v[4:5], 3, v[4:5]
	v_add_co_u32_e32 v4, vcc, s0, v4
	v_addc_co_u32_e32 v5, vcc, v6, v5, vcc
	global_load_dwordx2 v[6:7], v[4:5], off
	s_waitcnt vmcnt(0)
	v_pk_fma_f32 v[6:7], v[2:3], v[0:1], v[6:7] op_sel_hi:[1,0,1]
	v_pk_fma_f32 v[0:1], v[8:9], v[0:1], v[6:7] op_sel:[0,1,0]
	global_store_dwordx2 v[4:5], v[0:1], off
.LBB4_6:
	s_endpgm
	.section	.rodata,"a",@progbits
	.p2align	6, 0x0
	.amdhsa_kernel _ZN9rocsparseL12axpyi_kernelILj256E21rocsparse_complex_numIfEiS2_S2_EEvT1_NS_24const_host_device_scalarIT0_EEPKT2_PKS3_PT3_21rocsparse_index_base_b
		.amdhsa_group_segment_fixed_size 0
		.amdhsa_private_segment_fixed_size 0
		.amdhsa_kernarg_size 48
		.amdhsa_user_sgpr_count 6
		.amdhsa_user_sgpr_private_segment_buffer 1
		.amdhsa_user_sgpr_dispatch_ptr 0
		.amdhsa_user_sgpr_queue_ptr 0
		.amdhsa_user_sgpr_kernarg_segment_ptr 1
		.amdhsa_user_sgpr_dispatch_id 0
		.amdhsa_user_sgpr_flat_scratch_init 0
		.amdhsa_user_sgpr_kernarg_preload_length 0
		.amdhsa_user_sgpr_kernarg_preload_offset 0
		.amdhsa_user_sgpr_private_segment_size 0
		.amdhsa_uses_dynamic_stack 0
		.amdhsa_system_sgpr_private_segment_wavefront_offset 0
		.amdhsa_system_sgpr_workgroup_id_x 1
		.amdhsa_system_sgpr_workgroup_id_y 0
		.amdhsa_system_sgpr_workgroup_id_z 0
		.amdhsa_system_sgpr_workgroup_info 0
		.amdhsa_system_vgpr_workitem_id 0
		.amdhsa_next_free_vgpr 10
		.amdhsa_next_free_sgpr 12
		.amdhsa_accum_offset 12
		.amdhsa_reserve_vcc 1
		.amdhsa_reserve_flat_scratch 0
		.amdhsa_float_round_mode_32 0
		.amdhsa_float_round_mode_16_64 0
		.amdhsa_float_denorm_mode_32 3
		.amdhsa_float_denorm_mode_16_64 3
		.amdhsa_dx10_clamp 1
		.amdhsa_ieee_mode 1
		.amdhsa_fp16_overflow 0
		.amdhsa_tg_split 0
		.amdhsa_exception_fp_ieee_invalid_op 0
		.amdhsa_exception_fp_denorm_src 0
		.amdhsa_exception_fp_ieee_div_zero 0
		.amdhsa_exception_fp_ieee_overflow 0
		.amdhsa_exception_fp_ieee_underflow 0
		.amdhsa_exception_fp_ieee_inexact 0
		.amdhsa_exception_int_div_zero 0
	.end_amdhsa_kernel
	.section	.text._ZN9rocsparseL12axpyi_kernelILj256E21rocsparse_complex_numIfEiS2_S2_EEvT1_NS_24const_host_device_scalarIT0_EEPKT2_PKS3_PT3_21rocsparse_index_base_b,"axG",@progbits,_ZN9rocsparseL12axpyi_kernelILj256E21rocsparse_complex_numIfEiS2_S2_EEvT1_NS_24const_host_device_scalarIT0_EEPKT2_PKS3_PT3_21rocsparse_index_base_b,comdat
.Lfunc_end4:
	.size	_ZN9rocsparseL12axpyi_kernelILj256E21rocsparse_complex_numIfEiS2_S2_EEvT1_NS_24const_host_device_scalarIT0_EEPKT2_PKS3_PT3_21rocsparse_index_base_b, .Lfunc_end4-_ZN9rocsparseL12axpyi_kernelILj256E21rocsparse_complex_numIfEiS2_S2_EEvT1_NS_24const_host_device_scalarIT0_EEPKT2_PKS3_PT3_21rocsparse_index_base_b
                                        ; -- End function
	.section	.AMDGPU.csdata,"",@progbits
; Kernel info:
; codeLenInByte = 304
; NumSgprs: 16
; NumVgprs: 10
; NumAgprs: 0
; TotalNumVgprs: 10
; ScratchSize: 0
; MemoryBound: 0
; FloatMode: 240
; IeeeMode: 1
; LDSByteSize: 0 bytes/workgroup (compile time only)
; SGPRBlocks: 1
; VGPRBlocks: 1
; NumSGPRsForWavesPerEU: 16
; NumVGPRsForWavesPerEU: 10
; AccumOffset: 12
; Occupancy: 8
; WaveLimiterHint : 1
; COMPUTE_PGM_RSRC2:SCRATCH_EN: 0
; COMPUTE_PGM_RSRC2:USER_SGPR: 6
; COMPUTE_PGM_RSRC2:TRAP_HANDLER: 0
; COMPUTE_PGM_RSRC2:TGID_X_EN: 1
; COMPUTE_PGM_RSRC2:TGID_Y_EN: 0
; COMPUTE_PGM_RSRC2:TGID_Z_EN: 0
; COMPUTE_PGM_RSRC2:TIDIG_COMP_CNT: 0
; COMPUTE_PGM_RSRC3_GFX90A:ACCUM_OFFSET: 2
; COMPUTE_PGM_RSRC3_GFX90A:TG_SPLIT: 0
	.section	.text._ZN9rocsparseL12axpyi_kernelILj256E21rocsparse_complex_numIdEiS2_S2_EEvT1_NS_24const_host_device_scalarIT0_EEPKT2_PKS3_PT3_21rocsparse_index_base_b,"axG",@progbits,_ZN9rocsparseL12axpyi_kernelILj256E21rocsparse_complex_numIdEiS2_S2_EEvT1_NS_24const_host_device_scalarIT0_EEPKT2_PKS3_PT3_21rocsparse_index_base_b,comdat
	.globl	_ZN9rocsparseL12axpyi_kernelILj256E21rocsparse_complex_numIdEiS2_S2_EEvT1_NS_24const_host_device_scalarIT0_EEPKT2_PKS3_PT3_21rocsparse_index_base_b ; -- Begin function _ZN9rocsparseL12axpyi_kernelILj256E21rocsparse_complex_numIdEiS2_S2_EEvT1_NS_24const_host_device_scalarIT0_EEPKT2_PKS3_PT3_21rocsparse_index_base_b
	.p2align	8
	.type	_ZN9rocsparseL12axpyi_kernelILj256E21rocsparse_complex_numIdEiS2_S2_EEvT1_NS_24const_host_device_scalarIT0_EEPKT2_PKS3_PT3_21rocsparse_index_base_b,@function
_ZN9rocsparseL12axpyi_kernelILj256E21rocsparse_complex_numIdEiS2_S2_EEvT1_NS_24const_host_device_scalarIT0_EEPKT2_PKS3_PT3_21rocsparse_index_base_b: ; @_ZN9rocsparseL12axpyi_kernelILj256E21rocsparse_complex_numIdEiS2_S2_EEvT1_NS_24const_host_device_scalarIT0_EEPKT2_PKS3_PT3_21rocsparse_index_base_b
; %bb.0:
	s_load_dwordx2 s[10:11], s[6:7], 0x30
	s_load_dwordx2 s[12:13], s[4:5], 0x4
	s_load_dwordx4 s[0:3], s[6:7], 0x8
	v_and_b32_e32 v4, 0x3ff, v0
	v_bfe_u32 v2, v0, 10, 10
	s_waitcnt lgkmcnt(0)
	s_and_b32 s4, 1, s11
	s_lshr_b32 s5, s12, 16
	s_mul_i32 s5, s5, s13
	v_mul_lo_u32 v1, s5, v4
	s_cmp_eq_u32 s4, 1
	v_mad_u32_u24 v1, v2, s13, v1
	v_bfe_u32 v0, v0, 20, 10
	v_add_lshl_u32 v2, v1, v0, 3
	v_pk_mov_b32 v[0:1], s[0:1], s[0:1] op_sel:[0,1]
	s_cselect_b64 vcc, -1, 0
	ds_write_b64 v2, v[0:1]
	s_mov_b64 s[4:5], src_shared_base
	v_cndmask_b32_e32 v0, v0, v2, vcc
	s_and_b64 vcc, vcc, exec
	s_cselect_b32 s4, s5, s1
	v_mov_b32_e32 v1, s4
	flat_load_dwordx2 v[0:1], v[0:1]
	v_pk_mov_b32 v[2:3], s[2:3], s[2:3] op_sel:[0,1]
	s_cbranch_vccnz .LBB5_2
; %bb.1:
	v_pk_mov_b32 v[2:3], s[0:1], s[0:1] op_sel:[0,1]
	flat_load_dwordx2 v[2:3], v[2:3] offset:8
.LBB5_2:
	s_load_dword s2, s[6:7], 0x0
	s_waitcnt vmcnt(0) lgkmcnt(0)
	v_cmp_neq_f64_e32 vcc, 0, v[0:1]
	v_cmp_neq_f64_e64 s[0:1], 0, v[2:3]
	v_lshl_or_b32 v4, s8, 8, v4
	s_or_b64 s[0:1], vcc, s[0:1]
	v_cmp_gt_i32_e32 vcc, s2, v4
	s_and_b64 s[0:1], s[0:1], vcc
	s_and_saveexec_b64 s[2:3], s[0:1]
	s_cbranch_execz .LBB5_4
; %bb.3:
	s_load_dwordx4 s[0:3], s[6:7], 0x18
	s_load_dwordx2 s[4:5], s[6:7], 0x28
	v_ashrrev_i32_e32 v5, 31, v4
	v_lshlrev_b64 v[6:7], 2, v[4:5]
	v_lshlrev_b64 v[4:5], 4, v[4:5]
	s_waitcnt lgkmcnt(0)
	v_mov_b32_e32 v8, s3
	v_add_co_u32_e32 v6, vcc, s2, v6
	v_addc_co_u32_e32 v7, vcc, v8, v7, vcc
	global_load_dword v8, v[6:7], off
	v_mov_b32_e32 v6, s1
	v_add_co_u32_e32 v4, vcc, s0, v4
	v_addc_co_u32_e32 v5, vcc, v6, v5, vcc
	v_mov_b32_e32 v10, s5
	global_load_dwordx4 v[4:7], v[4:5], off
	s_waitcnt vmcnt(1)
	v_subrev_u32_e32 v8, s10, v8
	v_ashrrev_i32_e32 v9, 31, v8
	v_lshlrev_b64 v[8:9], 4, v[8:9]
	v_add_co_u32_e32 v12, vcc, s4, v8
	v_addc_co_u32_e32 v13, vcc, v10, v9, vcc
	global_load_dwordx4 v[8:11], v[12:13], off
	s_waitcnt vmcnt(0)
	v_fmac_f64_e32 v[8:9], v[0:1], v[4:5]
	v_fmac_f64_e32 v[10:11], v[2:3], v[4:5]
	v_fma_f64 v[8:9], -v[2:3], v[6:7], v[8:9]
	v_fmac_f64_e32 v[10:11], v[0:1], v[6:7]
	global_store_dwordx4 v[12:13], v[8:11], off
.LBB5_4:
	s_endpgm
	.section	.rodata,"a",@progbits
	.p2align	6, 0x0
	.amdhsa_kernel _ZN9rocsparseL12axpyi_kernelILj256E21rocsparse_complex_numIdEiS2_S2_EEvT1_NS_24const_host_device_scalarIT0_EEPKT2_PKS3_PT3_21rocsparse_index_base_b
		.amdhsa_group_segment_fixed_size 2048
		.amdhsa_private_segment_fixed_size 0
		.amdhsa_kernarg_size 56
		.amdhsa_user_sgpr_count 8
		.amdhsa_user_sgpr_private_segment_buffer 1
		.amdhsa_user_sgpr_dispatch_ptr 1
		.amdhsa_user_sgpr_queue_ptr 0
		.amdhsa_user_sgpr_kernarg_segment_ptr 1
		.amdhsa_user_sgpr_dispatch_id 0
		.amdhsa_user_sgpr_flat_scratch_init 0
		.amdhsa_user_sgpr_kernarg_preload_length 0
		.amdhsa_user_sgpr_kernarg_preload_offset 0
		.amdhsa_user_sgpr_private_segment_size 0
		.amdhsa_uses_dynamic_stack 0
		.amdhsa_system_sgpr_private_segment_wavefront_offset 0
		.amdhsa_system_sgpr_workgroup_id_x 1
		.amdhsa_system_sgpr_workgroup_id_y 0
		.amdhsa_system_sgpr_workgroup_id_z 0
		.amdhsa_system_sgpr_workgroup_info 0
		.amdhsa_system_vgpr_workitem_id 2
		.amdhsa_next_free_vgpr 14
		.amdhsa_next_free_sgpr 14
		.amdhsa_accum_offset 16
		.amdhsa_reserve_vcc 1
		.amdhsa_reserve_flat_scratch 0
		.amdhsa_float_round_mode_32 0
		.amdhsa_float_round_mode_16_64 0
		.amdhsa_float_denorm_mode_32 3
		.amdhsa_float_denorm_mode_16_64 3
		.amdhsa_dx10_clamp 1
		.amdhsa_ieee_mode 1
		.amdhsa_fp16_overflow 0
		.amdhsa_tg_split 0
		.amdhsa_exception_fp_ieee_invalid_op 0
		.amdhsa_exception_fp_denorm_src 0
		.amdhsa_exception_fp_ieee_div_zero 0
		.amdhsa_exception_fp_ieee_overflow 0
		.amdhsa_exception_fp_ieee_underflow 0
		.amdhsa_exception_fp_ieee_inexact 0
		.amdhsa_exception_int_div_zero 0
	.end_amdhsa_kernel
	.section	.text._ZN9rocsparseL12axpyi_kernelILj256E21rocsparse_complex_numIdEiS2_S2_EEvT1_NS_24const_host_device_scalarIT0_EEPKT2_PKS3_PT3_21rocsparse_index_base_b,"axG",@progbits,_ZN9rocsparseL12axpyi_kernelILj256E21rocsparse_complex_numIdEiS2_S2_EEvT1_NS_24const_host_device_scalarIT0_EEPKT2_PKS3_PT3_21rocsparse_index_base_b,comdat
.Lfunc_end5:
	.size	_ZN9rocsparseL12axpyi_kernelILj256E21rocsparse_complex_numIdEiS2_S2_EEvT1_NS_24const_host_device_scalarIT0_EEPKT2_PKS3_PT3_21rocsparse_index_base_b, .Lfunc_end5-_ZN9rocsparseL12axpyi_kernelILj256E21rocsparse_complex_numIdEiS2_S2_EEvT1_NS_24const_host_device_scalarIT0_EEPKT2_PKS3_PT3_21rocsparse_index_base_b
                                        ; -- End function
	.section	.AMDGPU.csdata,"",@progbits
; Kernel info:
; codeLenInByte = 376
; NumSgprs: 18
; NumVgprs: 14
; NumAgprs: 0
; TotalNumVgprs: 14
; ScratchSize: 0
; MemoryBound: 0
; FloatMode: 240
; IeeeMode: 1
; LDSByteSize: 2048 bytes/workgroup (compile time only)
; SGPRBlocks: 2
; VGPRBlocks: 1
; NumSGPRsForWavesPerEU: 18
; NumVGPRsForWavesPerEU: 14
; AccumOffset: 16
; Occupancy: 8
; WaveLimiterHint : 1
; COMPUTE_PGM_RSRC2:SCRATCH_EN: 0
; COMPUTE_PGM_RSRC2:USER_SGPR: 8
; COMPUTE_PGM_RSRC2:TRAP_HANDLER: 0
; COMPUTE_PGM_RSRC2:TGID_X_EN: 1
; COMPUTE_PGM_RSRC2:TGID_Y_EN: 0
; COMPUTE_PGM_RSRC2:TGID_Z_EN: 0
; COMPUTE_PGM_RSRC2:TIDIG_COMP_CNT: 2
; COMPUTE_PGM_RSRC3_GFX90A:ACCUM_OFFSET: 3
; COMPUTE_PGM_RSRC3_GFX90A:TG_SPLIT: 0
	.section	.text._ZN9rocsparseL12axpyi_kernelILj256Efl18rocsparse_bfloat16S1_EEvT1_NS_24const_host_device_scalarIT0_EEPKT2_PKS2_PT3_21rocsparse_index_base_b,"axG",@progbits,_ZN9rocsparseL12axpyi_kernelILj256Efl18rocsparse_bfloat16S1_EEvT1_NS_24const_host_device_scalarIT0_EEPKT2_PKS2_PT3_21rocsparse_index_base_b,comdat
	.globl	_ZN9rocsparseL12axpyi_kernelILj256Efl18rocsparse_bfloat16S1_EEvT1_NS_24const_host_device_scalarIT0_EEPKT2_PKS2_PT3_21rocsparse_index_base_b ; -- Begin function _ZN9rocsparseL12axpyi_kernelILj256Efl18rocsparse_bfloat16S1_EEvT1_NS_24const_host_device_scalarIT0_EEPKT2_PKS2_PT3_21rocsparse_index_base_b
	.p2align	8
	.type	_ZN9rocsparseL12axpyi_kernelILj256Efl18rocsparse_bfloat16S1_EEvT1_NS_24const_host_device_scalarIT0_EEPKT2_PKS2_PT3_21rocsparse_index_base_b,@function
_ZN9rocsparseL12axpyi_kernelILj256Efl18rocsparse_bfloat16S1_EEvT1_NS_24const_host_device_scalarIT0_EEPKT2_PKS2_PT3_21rocsparse_index_base_b: ; @_ZN9rocsparseL12axpyi_kernelILj256Efl18rocsparse_bfloat16S1_EEvT1_NS_24const_host_device_scalarIT0_EEPKT2_PKS2_PT3_21rocsparse_index_base_b
; %bb.0:
	s_endpgm
	.section	.rodata,"a",@progbits
	.p2align	6, 0x0
	.amdhsa_kernel _ZN9rocsparseL12axpyi_kernelILj256Efl18rocsparse_bfloat16S1_EEvT1_NS_24const_host_device_scalarIT0_EEPKT2_PKS2_PT3_21rocsparse_index_base_b
		.amdhsa_group_segment_fixed_size 0
		.amdhsa_private_segment_fixed_size 0
		.amdhsa_kernarg_size 48
		.amdhsa_user_sgpr_count 6
		.amdhsa_user_sgpr_private_segment_buffer 1
		.amdhsa_user_sgpr_dispatch_ptr 0
		.amdhsa_user_sgpr_queue_ptr 0
		.amdhsa_user_sgpr_kernarg_segment_ptr 1
		.amdhsa_user_sgpr_dispatch_id 0
		.amdhsa_user_sgpr_flat_scratch_init 0
		.amdhsa_user_sgpr_kernarg_preload_length 0
		.amdhsa_user_sgpr_kernarg_preload_offset 0
		.amdhsa_user_sgpr_private_segment_size 0
		.amdhsa_uses_dynamic_stack 0
		.amdhsa_system_sgpr_private_segment_wavefront_offset 0
		.amdhsa_system_sgpr_workgroup_id_x 1
		.amdhsa_system_sgpr_workgroup_id_y 0
		.amdhsa_system_sgpr_workgroup_id_z 0
		.amdhsa_system_sgpr_workgroup_info 0
		.amdhsa_system_vgpr_workitem_id 0
		.amdhsa_next_free_vgpr 1
		.amdhsa_next_free_sgpr 0
		.amdhsa_accum_offset 4
		.amdhsa_reserve_vcc 0
		.amdhsa_reserve_flat_scratch 0
		.amdhsa_float_round_mode_32 0
		.amdhsa_float_round_mode_16_64 0
		.amdhsa_float_denorm_mode_32 3
		.amdhsa_float_denorm_mode_16_64 3
		.amdhsa_dx10_clamp 1
		.amdhsa_ieee_mode 1
		.amdhsa_fp16_overflow 0
		.amdhsa_tg_split 0
		.amdhsa_exception_fp_ieee_invalid_op 0
		.amdhsa_exception_fp_denorm_src 0
		.amdhsa_exception_fp_ieee_div_zero 0
		.amdhsa_exception_fp_ieee_overflow 0
		.amdhsa_exception_fp_ieee_underflow 0
		.amdhsa_exception_fp_ieee_inexact 0
		.amdhsa_exception_int_div_zero 0
	.end_amdhsa_kernel
	.section	.text._ZN9rocsparseL12axpyi_kernelILj256Efl18rocsparse_bfloat16S1_EEvT1_NS_24const_host_device_scalarIT0_EEPKT2_PKS2_PT3_21rocsparse_index_base_b,"axG",@progbits,_ZN9rocsparseL12axpyi_kernelILj256Efl18rocsparse_bfloat16S1_EEvT1_NS_24const_host_device_scalarIT0_EEPKT2_PKS2_PT3_21rocsparse_index_base_b,comdat
.Lfunc_end6:
	.size	_ZN9rocsparseL12axpyi_kernelILj256Efl18rocsparse_bfloat16S1_EEvT1_NS_24const_host_device_scalarIT0_EEPKT2_PKS2_PT3_21rocsparse_index_base_b, .Lfunc_end6-_ZN9rocsparseL12axpyi_kernelILj256Efl18rocsparse_bfloat16S1_EEvT1_NS_24const_host_device_scalarIT0_EEPKT2_PKS2_PT3_21rocsparse_index_base_b
                                        ; -- End function
	.section	.AMDGPU.csdata,"",@progbits
; Kernel info:
; codeLenInByte = 4
; NumSgprs: 4
; NumVgprs: 0
; NumAgprs: 0
; TotalNumVgprs: 0
; ScratchSize: 0
; MemoryBound: 0
; FloatMode: 240
; IeeeMode: 1
; LDSByteSize: 0 bytes/workgroup (compile time only)
; SGPRBlocks: 0
; VGPRBlocks: 0
; NumSGPRsForWavesPerEU: 4
; NumVGPRsForWavesPerEU: 1
; AccumOffset: 4
; Occupancy: 8
; WaveLimiterHint : 0
; COMPUTE_PGM_RSRC2:SCRATCH_EN: 0
; COMPUTE_PGM_RSRC2:USER_SGPR: 6
; COMPUTE_PGM_RSRC2:TRAP_HANDLER: 0
; COMPUTE_PGM_RSRC2:TGID_X_EN: 1
; COMPUTE_PGM_RSRC2:TGID_Y_EN: 0
; COMPUTE_PGM_RSRC2:TGID_Z_EN: 0
; COMPUTE_PGM_RSRC2:TIDIG_COMP_CNT: 0
; COMPUTE_PGM_RSRC3_GFX90A:ACCUM_OFFSET: 0
; COMPUTE_PGM_RSRC3_GFX90A:TG_SPLIT: 0
	.section	.text._ZN9rocsparseL12axpyi_kernelILj256EflDF16_DF16_EEvT1_NS_24const_host_device_scalarIT0_EEPKT2_PKS1_PT3_21rocsparse_index_base_b,"axG",@progbits,_ZN9rocsparseL12axpyi_kernelILj256EflDF16_DF16_EEvT1_NS_24const_host_device_scalarIT0_EEPKT2_PKS1_PT3_21rocsparse_index_base_b,comdat
	.globl	_ZN9rocsparseL12axpyi_kernelILj256EflDF16_DF16_EEvT1_NS_24const_host_device_scalarIT0_EEPKT2_PKS1_PT3_21rocsparse_index_base_b ; -- Begin function _ZN9rocsparseL12axpyi_kernelILj256EflDF16_DF16_EEvT1_NS_24const_host_device_scalarIT0_EEPKT2_PKS1_PT3_21rocsparse_index_base_b
	.p2align	8
	.type	_ZN9rocsparseL12axpyi_kernelILj256EflDF16_DF16_EEvT1_NS_24const_host_device_scalarIT0_EEPKT2_PKS1_PT3_21rocsparse_index_base_b,@function
_ZN9rocsparseL12axpyi_kernelILj256EflDF16_DF16_EEvT1_NS_24const_host_device_scalarIT0_EEPKT2_PKS1_PT3_21rocsparse_index_base_b: ; @_ZN9rocsparseL12axpyi_kernelILj256EflDF16_DF16_EEvT1_NS_24const_host_device_scalarIT0_EEPKT2_PKS1_PT3_21rocsparse_index_base_b
; %bb.0:
	s_load_dwordx2 s[8:9], s[4:5], 0x28
	s_load_dwordx4 s[0:3], s[4:5], 0x0
	s_waitcnt lgkmcnt(0)
	s_bitcmp1_b32 s9, 0
	s_cselect_b64 s[10:11], -1, 0
	s_and_b64 vcc, exec, s[10:11]
	s_cbranch_vccnz .LBB7_2
; %bb.1:
	s_load_dword s2, s[2:3], 0x0
.LBB7_2:
	v_lshl_or_b32 v0, s6, 8, v0
	v_mov_b32_e32 v1, 0
	s_waitcnt lgkmcnt(0)
	v_cmp_neq_f32_e64 s[10:11], s2, 0
	v_cmp_gt_i64_e32 vcc, s[0:1], v[0:1]
	s_and_b64 s[0:1], s[10:11], vcc
	s_and_saveexec_b64 s[6:7], s[0:1]
	s_cbranch_execz .LBB7_4
; %bb.3:
	s_load_dwordx4 s[12:15], s[4:5], 0x10
	s_load_dwordx2 s[0:1], s[4:5], 0x20
	v_lshlrev_b64 v[2:3], 3, v[0:1]
	v_lshlrev_b64 v[0:1], 1, v[0:1]
	s_waitcnt lgkmcnt(0)
	v_mov_b32_e32 v4, s15
	v_add_co_u32_e32 v2, vcc, s14, v2
	v_addc_co_u32_e32 v3, vcc, v4, v3, vcc
	global_load_dwordx2 v[2:3], v[2:3], off
	v_mov_b32_e32 v4, s13
	v_add_co_u32_e32 v0, vcc, s12, v0
	v_addc_co_u32_e32 v1, vcc, v4, v1, vcc
	global_load_ushort v4, v[0:1], off
	v_mov_b32_e32 v5, s1
	s_waitcnt vmcnt(1)
	v_subrev_co_u32_e32 v0, vcc, s8, v2
	v_subbrev_co_u32_e32 v1, vcc, 0, v3, vcc
	v_lshlrev_b64 v[0:1], 1, v[0:1]
	v_add_co_u32_e32 v0, vcc, s0, v0
	v_addc_co_u32_e32 v1, vcc, v5, v1, vcc
	global_load_ushort v2, v[0:1], off
	s_waitcnt vmcnt(0)
	v_fma_mixlo_f16 v2, s2, v4, v2 op_sel_hi:[0,1,1]
	global_store_short v[0:1], v2, off
.LBB7_4:
	s_endpgm
	.section	.rodata,"a",@progbits
	.p2align	6, 0x0
	.amdhsa_kernel _ZN9rocsparseL12axpyi_kernelILj256EflDF16_DF16_EEvT1_NS_24const_host_device_scalarIT0_EEPKT2_PKS1_PT3_21rocsparse_index_base_b
		.amdhsa_group_segment_fixed_size 0
		.amdhsa_private_segment_fixed_size 0
		.amdhsa_kernarg_size 48
		.amdhsa_user_sgpr_count 6
		.amdhsa_user_sgpr_private_segment_buffer 1
		.amdhsa_user_sgpr_dispatch_ptr 0
		.amdhsa_user_sgpr_queue_ptr 0
		.amdhsa_user_sgpr_kernarg_segment_ptr 1
		.amdhsa_user_sgpr_dispatch_id 0
		.amdhsa_user_sgpr_flat_scratch_init 0
		.amdhsa_user_sgpr_kernarg_preload_length 0
		.amdhsa_user_sgpr_kernarg_preload_offset 0
		.amdhsa_user_sgpr_private_segment_size 0
		.amdhsa_uses_dynamic_stack 0
		.amdhsa_system_sgpr_private_segment_wavefront_offset 0
		.amdhsa_system_sgpr_workgroup_id_x 1
		.amdhsa_system_sgpr_workgroup_id_y 0
		.amdhsa_system_sgpr_workgroup_id_z 0
		.amdhsa_system_sgpr_workgroup_info 0
		.amdhsa_system_vgpr_workitem_id 0
		.amdhsa_next_free_vgpr 6
		.amdhsa_next_free_sgpr 16
		.amdhsa_accum_offset 8
		.amdhsa_reserve_vcc 1
		.amdhsa_reserve_flat_scratch 0
		.amdhsa_float_round_mode_32 0
		.amdhsa_float_round_mode_16_64 0
		.amdhsa_float_denorm_mode_32 3
		.amdhsa_float_denorm_mode_16_64 3
		.amdhsa_dx10_clamp 1
		.amdhsa_ieee_mode 1
		.amdhsa_fp16_overflow 0
		.amdhsa_tg_split 0
		.amdhsa_exception_fp_ieee_invalid_op 0
		.amdhsa_exception_fp_denorm_src 0
		.amdhsa_exception_fp_ieee_div_zero 0
		.amdhsa_exception_fp_ieee_overflow 0
		.amdhsa_exception_fp_ieee_underflow 0
		.amdhsa_exception_fp_ieee_inexact 0
		.amdhsa_exception_int_div_zero 0
	.end_amdhsa_kernel
	.section	.text._ZN9rocsparseL12axpyi_kernelILj256EflDF16_DF16_EEvT1_NS_24const_host_device_scalarIT0_EEPKT2_PKS1_PT3_21rocsparse_index_base_b,"axG",@progbits,_ZN9rocsparseL12axpyi_kernelILj256EflDF16_DF16_EEvT1_NS_24const_host_device_scalarIT0_EEPKT2_PKS1_PT3_21rocsparse_index_base_b,comdat
.Lfunc_end7:
	.size	_ZN9rocsparseL12axpyi_kernelILj256EflDF16_DF16_EEvT1_NS_24const_host_device_scalarIT0_EEPKT2_PKS1_PT3_21rocsparse_index_base_b, .Lfunc_end7-_ZN9rocsparseL12axpyi_kernelILj256EflDF16_DF16_EEvT1_NS_24const_host_device_scalarIT0_EEPKT2_PKS1_PT3_21rocsparse_index_base_b
                                        ; -- End function
	.section	.AMDGPU.csdata,"",@progbits
; Kernel info:
; codeLenInByte = 224
; NumSgprs: 20
; NumVgprs: 6
; NumAgprs: 0
; TotalNumVgprs: 6
; ScratchSize: 0
; MemoryBound: 0
; FloatMode: 240
; IeeeMode: 1
; LDSByteSize: 0 bytes/workgroup (compile time only)
; SGPRBlocks: 2
; VGPRBlocks: 0
; NumSGPRsForWavesPerEU: 20
; NumVGPRsForWavesPerEU: 6
; AccumOffset: 8
; Occupancy: 8
; WaveLimiterHint : 1
; COMPUTE_PGM_RSRC2:SCRATCH_EN: 0
; COMPUTE_PGM_RSRC2:USER_SGPR: 6
; COMPUTE_PGM_RSRC2:TRAP_HANDLER: 0
; COMPUTE_PGM_RSRC2:TGID_X_EN: 1
; COMPUTE_PGM_RSRC2:TGID_Y_EN: 0
; COMPUTE_PGM_RSRC2:TGID_Z_EN: 0
; COMPUTE_PGM_RSRC2:TIDIG_COMP_CNT: 0
; COMPUTE_PGM_RSRC3_GFX90A:ACCUM_OFFSET: 1
; COMPUTE_PGM_RSRC3_GFX90A:TG_SPLIT: 0
	.section	.text._ZN9rocsparseL12axpyi_kernelILj256EflffEEvT1_NS_24const_host_device_scalarIT0_EEPKT2_PKS1_PT3_21rocsparse_index_base_b,"axG",@progbits,_ZN9rocsparseL12axpyi_kernelILj256EflffEEvT1_NS_24const_host_device_scalarIT0_EEPKT2_PKS1_PT3_21rocsparse_index_base_b,comdat
	.globl	_ZN9rocsparseL12axpyi_kernelILj256EflffEEvT1_NS_24const_host_device_scalarIT0_EEPKT2_PKS1_PT3_21rocsparse_index_base_b ; -- Begin function _ZN9rocsparseL12axpyi_kernelILj256EflffEEvT1_NS_24const_host_device_scalarIT0_EEPKT2_PKS1_PT3_21rocsparse_index_base_b
	.p2align	8
	.type	_ZN9rocsparseL12axpyi_kernelILj256EflffEEvT1_NS_24const_host_device_scalarIT0_EEPKT2_PKS1_PT3_21rocsparse_index_base_b,@function
_ZN9rocsparseL12axpyi_kernelILj256EflffEEvT1_NS_24const_host_device_scalarIT0_EEPKT2_PKS1_PT3_21rocsparse_index_base_b: ; @_ZN9rocsparseL12axpyi_kernelILj256EflffEEvT1_NS_24const_host_device_scalarIT0_EEPKT2_PKS1_PT3_21rocsparse_index_base_b
; %bb.0:
	s_load_dwordx2 s[8:9], s[4:5], 0x28
	s_load_dwordx4 s[0:3], s[4:5], 0x0
	s_waitcnt lgkmcnt(0)
	s_bitcmp1_b32 s9, 0
	s_cselect_b64 s[10:11], -1, 0
	s_and_b64 vcc, exec, s[10:11]
	s_cbranch_vccnz .LBB8_2
; %bb.1:
	s_load_dword s2, s[2:3], 0x0
.LBB8_2:
	v_lshl_or_b32 v0, s6, 8, v0
	v_mov_b32_e32 v1, 0
	s_waitcnt lgkmcnt(0)
	v_cmp_neq_f32_e64 s[10:11], s2, 0
	v_cmp_gt_i64_e32 vcc, s[0:1], v[0:1]
	s_and_b64 s[0:1], s[10:11], vcc
	s_and_saveexec_b64 s[6:7], s[0:1]
	s_cbranch_execz .LBB8_4
; %bb.3:
	s_load_dwordx4 s[12:15], s[4:5], 0x10
	s_load_dwordx2 s[0:1], s[4:5], 0x20
	v_lshlrev_b64 v[2:3], 3, v[0:1]
	v_lshlrev_b64 v[0:1], 2, v[0:1]
	s_waitcnt lgkmcnt(0)
	v_mov_b32_e32 v4, s15
	v_add_co_u32_e32 v2, vcc, s14, v2
	v_addc_co_u32_e32 v3, vcc, v4, v3, vcc
	global_load_dwordx2 v[2:3], v[2:3], off
	v_mov_b32_e32 v4, s13
	v_add_co_u32_e32 v0, vcc, s12, v0
	v_addc_co_u32_e32 v1, vcc, v4, v1, vcc
	global_load_dword v4, v[0:1], off
	v_mov_b32_e32 v5, s1
	s_waitcnt vmcnt(1)
	v_subrev_co_u32_e32 v0, vcc, s8, v2
	v_subbrev_co_u32_e32 v1, vcc, 0, v3, vcc
	v_lshlrev_b64 v[0:1], 2, v[0:1]
	v_add_co_u32_e32 v0, vcc, s0, v0
	v_addc_co_u32_e32 v1, vcc, v5, v1, vcc
	global_load_dword v2, v[0:1], off
	s_waitcnt vmcnt(0)
	v_fmac_f32_e32 v2, s2, v4
	global_store_dword v[0:1], v2, off
.LBB8_4:
	s_endpgm
	.section	.rodata,"a",@progbits
	.p2align	6, 0x0
	.amdhsa_kernel _ZN9rocsparseL12axpyi_kernelILj256EflffEEvT1_NS_24const_host_device_scalarIT0_EEPKT2_PKS1_PT3_21rocsparse_index_base_b
		.amdhsa_group_segment_fixed_size 0
		.amdhsa_private_segment_fixed_size 0
		.amdhsa_kernarg_size 48
		.amdhsa_user_sgpr_count 6
		.amdhsa_user_sgpr_private_segment_buffer 1
		.amdhsa_user_sgpr_dispatch_ptr 0
		.amdhsa_user_sgpr_queue_ptr 0
		.amdhsa_user_sgpr_kernarg_segment_ptr 1
		.amdhsa_user_sgpr_dispatch_id 0
		.amdhsa_user_sgpr_flat_scratch_init 0
		.amdhsa_user_sgpr_kernarg_preload_length 0
		.amdhsa_user_sgpr_kernarg_preload_offset 0
		.amdhsa_user_sgpr_private_segment_size 0
		.amdhsa_uses_dynamic_stack 0
		.amdhsa_system_sgpr_private_segment_wavefront_offset 0
		.amdhsa_system_sgpr_workgroup_id_x 1
		.amdhsa_system_sgpr_workgroup_id_y 0
		.amdhsa_system_sgpr_workgroup_id_z 0
		.amdhsa_system_sgpr_workgroup_info 0
		.amdhsa_system_vgpr_workitem_id 0
		.amdhsa_next_free_vgpr 6
		.amdhsa_next_free_sgpr 16
		.amdhsa_accum_offset 8
		.amdhsa_reserve_vcc 1
		.amdhsa_reserve_flat_scratch 0
		.amdhsa_float_round_mode_32 0
		.amdhsa_float_round_mode_16_64 0
		.amdhsa_float_denorm_mode_32 3
		.amdhsa_float_denorm_mode_16_64 3
		.amdhsa_dx10_clamp 1
		.amdhsa_ieee_mode 1
		.amdhsa_fp16_overflow 0
		.amdhsa_tg_split 0
		.amdhsa_exception_fp_ieee_invalid_op 0
		.amdhsa_exception_fp_denorm_src 0
		.amdhsa_exception_fp_ieee_div_zero 0
		.amdhsa_exception_fp_ieee_overflow 0
		.amdhsa_exception_fp_ieee_underflow 0
		.amdhsa_exception_fp_ieee_inexact 0
		.amdhsa_exception_int_div_zero 0
	.end_amdhsa_kernel
	.section	.text._ZN9rocsparseL12axpyi_kernelILj256EflffEEvT1_NS_24const_host_device_scalarIT0_EEPKT2_PKS1_PT3_21rocsparse_index_base_b,"axG",@progbits,_ZN9rocsparseL12axpyi_kernelILj256EflffEEvT1_NS_24const_host_device_scalarIT0_EEPKT2_PKS1_PT3_21rocsparse_index_base_b,comdat
.Lfunc_end8:
	.size	_ZN9rocsparseL12axpyi_kernelILj256EflffEEvT1_NS_24const_host_device_scalarIT0_EEPKT2_PKS1_PT3_21rocsparse_index_base_b, .Lfunc_end8-_ZN9rocsparseL12axpyi_kernelILj256EflffEEvT1_NS_24const_host_device_scalarIT0_EEPKT2_PKS1_PT3_21rocsparse_index_base_b
                                        ; -- End function
	.section	.AMDGPU.csdata,"",@progbits
; Kernel info:
; codeLenInByte = 220
; NumSgprs: 20
; NumVgprs: 6
; NumAgprs: 0
; TotalNumVgprs: 6
; ScratchSize: 0
; MemoryBound: 0
; FloatMode: 240
; IeeeMode: 1
; LDSByteSize: 0 bytes/workgroup (compile time only)
; SGPRBlocks: 2
; VGPRBlocks: 0
; NumSGPRsForWavesPerEU: 20
; NumVGPRsForWavesPerEU: 6
; AccumOffset: 8
; Occupancy: 8
; WaveLimiterHint : 1
; COMPUTE_PGM_RSRC2:SCRATCH_EN: 0
; COMPUTE_PGM_RSRC2:USER_SGPR: 6
; COMPUTE_PGM_RSRC2:TRAP_HANDLER: 0
; COMPUTE_PGM_RSRC2:TGID_X_EN: 1
; COMPUTE_PGM_RSRC2:TGID_Y_EN: 0
; COMPUTE_PGM_RSRC2:TGID_Z_EN: 0
; COMPUTE_PGM_RSRC2:TIDIG_COMP_CNT: 0
; COMPUTE_PGM_RSRC3_GFX90A:ACCUM_OFFSET: 1
; COMPUTE_PGM_RSRC3_GFX90A:TG_SPLIT: 0
	.section	.text._ZN9rocsparseL12axpyi_kernelILj256EdlddEEvT1_NS_24const_host_device_scalarIT0_EEPKT2_PKS1_PT3_21rocsparse_index_base_b,"axG",@progbits,_ZN9rocsparseL12axpyi_kernelILj256EdlddEEvT1_NS_24const_host_device_scalarIT0_EEPKT2_PKS1_PT3_21rocsparse_index_base_b,comdat
	.globl	_ZN9rocsparseL12axpyi_kernelILj256EdlddEEvT1_NS_24const_host_device_scalarIT0_EEPKT2_PKS1_PT3_21rocsparse_index_base_b ; -- Begin function _ZN9rocsparseL12axpyi_kernelILj256EdlddEEvT1_NS_24const_host_device_scalarIT0_EEPKT2_PKS1_PT3_21rocsparse_index_base_b
	.p2align	8
	.type	_ZN9rocsparseL12axpyi_kernelILj256EdlddEEvT1_NS_24const_host_device_scalarIT0_EEPKT2_PKS1_PT3_21rocsparse_index_base_b,@function
_ZN9rocsparseL12axpyi_kernelILj256EdlddEEvT1_NS_24const_host_device_scalarIT0_EEPKT2_PKS1_PT3_21rocsparse_index_base_b: ; @_ZN9rocsparseL12axpyi_kernelILj256EdlddEEvT1_NS_24const_host_device_scalarIT0_EEPKT2_PKS1_PT3_21rocsparse_index_base_b
; %bb.0:
	s_load_dwordx2 s[8:9], s[4:5], 0x28
	s_load_dwordx4 s[0:3], s[4:5], 0x0
	s_waitcnt lgkmcnt(0)
	s_bitcmp1_b32 s9, 0
	s_cselect_b64 s[10:11], -1, 0
	s_and_b64 vcc, exec, s[10:11]
	v_pk_mov_b32 v[2:3], s[2:3], s[2:3] op_sel:[0,1]
	s_cbranch_vccnz .LBB9_2
; %bb.1:
	v_pk_mov_b32 v[2:3], s[2:3], s[2:3] op_sel:[0,1]
	flat_load_dwordx2 v[2:3], v[2:3]
.LBB9_2:
	v_lshl_or_b32 v0, s6, 8, v0
	v_mov_b32_e32 v1, 0
	s_waitcnt vmcnt(0) lgkmcnt(0)
	v_cmp_neq_f64_e32 vcc, 0, v[2:3]
	v_cmp_gt_i64_e64 s[0:1], s[0:1], v[0:1]
	s_and_b64 s[0:1], vcc, s[0:1]
	s_and_saveexec_b64 s[2:3], s[0:1]
	s_cbranch_execz .LBB9_4
; %bb.3:
	s_load_dwordx4 s[0:3], s[4:5], 0x10
	s_load_dwordx2 s[6:7], s[4:5], 0x20
	v_lshlrev_b64 v[0:1], 3, v[0:1]
	s_waitcnt lgkmcnt(0)
	v_mov_b32_e32 v5, s3
	v_add_co_u32_e32 v4, vcc, s2, v0
	v_addc_co_u32_e32 v5, vcc, v5, v1, vcc
	global_load_dwordx2 v[4:5], v[4:5], off
	v_mov_b32_e32 v6, s1
	v_add_co_u32_e32 v0, vcc, s0, v0
	v_addc_co_u32_e32 v1, vcc, v6, v1, vcc
	v_mov_b32_e32 v7, s7
	global_load_dwordx2 v[0:1], v[0:1], off
	s_waitcnt vmcnt(1)
	v_subrev_co_u32_e32 v4, vcc, s8, v4
	v_subbrev_co_u32_e32 v5, vcc, 0, v5, vcc
	v_lshlrev_b64 v[4:5], 3, v[4:5]
	v_add_co_u32_e32 v4, vcc, s6, v4
	v_addc_co_u32_e32 v5, vcc, v7, v5, vcc
	global_load_dwordx2 v[6:7], v[4:5], off
	s_waitcnt vmcnt(0)
	v_fmac_f64_e32 v[6:7], v[2:3], v[0:1]
	global_store_dwordx2 v[4:5], v[6:7], off
.LBB9_4:
	s_endpgm
	.section	.rodata,"a",@progbits
	.p2align	6, 0x0
	.amdhsa_kernel _ZN9rocsparseL12axpyi_kernelILj256EdlddEEvT1_NS_24const_host_device_scalarIT0_EEPKT2_PKS1_PT3_21rocsparse_index_base_b
		.amdhsa_group_segment_fixed_size 0
		.amdhsa_private_segment_fixed_size 0
		.amdhsa_kernarg_size 48
		.amdhsa_user_sgpr_count 6
		.amdhsa_user_sgpr_private_segment_buffer 1
		.amdhsa_user_sgpr_dispatch_ptr 0
		.amdhsa_user_sgpr_queue_ptr 0
		.amdhsa_user_sgpr_kernarg_segment_ptr 1
		.amdhsa_user_sgpr_dispatch_id 0
		.amdhsa_user_sgpr_flat_scratch_init 0
		.amdhsa_user_sgpr_kernarg_preload_length 0
		.amdhsa_user_sgpr_kernarg_preload_offset 0
		.amdhsa_user_sgpr_private_segment_size 0
		.amdhsa_uses_dynamic_stack 0
		.amdhsa_system_sgpr_private_segment_wavefront_offset 0
		.amdhsa_system_sgpr_workgroup_id_x 1
		.amdhsa_system_sgpr_workgroup_id_y 0
		.amdhsa_system_sgpr_workgroup_id_z 0
		.amdhsa_system_sgpr_workgroup_info 0
		.amdhsa_system_vgpr_workitem_id 0
		.amdhsa_next_free_vgpr 8
		.amdhsa_next_free_sgpr 12
		.amdhsa_accum_offset 8
		.amdhsa_reserve_vcc 1
		.amdhsa_reserve_flat_scratch 0
		.amdhsa_float_round_mode_32 0
		.amdhsa_float_round_mode_16_64 0
		.amdhsa_float_denorm_mode_32 3
		.amdhsa_float_denorm_mode_16_64 3
		.amdhsa_dx10_clamp 1
		.amdhsa_ieee_mode 1
		.amdhsa_fp16_overflow 0
		.amdhsa_tg_split 0
		.amdhsa_exception_fp_ieee_invalid_op 0
		.amdhsa_exception_fp_denorm_src 0
		.amdhsa_exception_fp_ieee_div_zero 0
		.amdhsa_exception_fp_ieee_overflow 0
		.amdhsa_exception_fp_ieee_underflow 0
		.amdhsa_exception_fp_ieee_inexact 0
		.amdhsa_exception_int_div_zero 0
	.end_amdhsa_kernel
	.section	.text._ZN9rocsparseL12axpyi_kernelILj256EdlddEEvT1_NS_24const_host_device_scalarIT0_EEPKT2_PKS1_PT3_21rocsparse_index_base_b,"axG",@progbits,_ZN9rocsparseL12axpyi_kernelILj256EdlddEEvT1_NS_24const_host_device_scalarIT0_EEPKT2_PKS1_PT3_21rocsparse_index_base_b,comdat
.Lfunc_end9:
	.size	_ZN9rocsparseL12axpyi_kernelILj256EdlddEEvT1_NS_24const_host_device_scalarIT0_EEPKT2_PKS1_PT3_21rocsparse_index_base_b, .Lfunc_end9-_ZN9rocsparseL12axpyi_kernelILj256EdlddEEvT1_NS_24const_host_device_scalarIT0_EEPKT2_PKS1_PT3_21rocsparse_index_base_b
                                        ; -- End function
	.section	.AMDGPU.csdata,"",@progbits
; Kernel info:
; codeLenInByte = 228
; NumSgprs: 16
; NumVgprs: 8
; NumAgprs: 0
; TotalNumVgprs: 8
; ScratchSize: 0
; MemoryBound: 0
; FloatMode: 240
; IeeeMode: 1
; LDSByteSize: 0 bytes/workgroup (compile time only)
; SGPRBlocks: 1
; VGPRBlocks: 0
; NumSGPRsForWavesPerEU: 16
; NumVGPRsForWavesPerEU: 8
; AccumOffset: 8
; Occupancy: 8
; WaveLimiterHint : 1
; COMPUTE_PGM_RSRC2:SCRATCH_EN: 0
; COMPUTE_PGM_RSRC2:USER_SGPR: 6
; COMPUTE_PGM_RSRC2:TRAP_HANDLER: 0
; COMPUTE_PGM_RSRC2:TGID_X_EN: 1
; COMPUTE_PGM_RSRC2:TGID_Y_EN: 0
; COMPUTE_PGM_RSRC2:TGID_Z_EN: 0
; COMPUTE_PGM_RSRC2:TIDIG_COMP_CNT: 0
; COMPUTE_PGM_RSRC3_GFX90A:ACCUM_OFFSET: 1
; COMPUTE_PGM_RSRC3_GFX90A:TG_SPLIT: 0
	.section	.text._ZN9rocsparseL12axpyi_kernelILj256E21rocsparse_complex_numIfElS2_S2_EEvT1_NS_24const_host_device_scalarIT0_EEPKT2_PKS3_PT3_21rocsparse_index_base_b,"axG",@progbits,_ZN9rocsparseL12axpyi_kernelILj256E21rocsparse_complex_numIfElS2_S2_EEvT1_NS_24const_host_device_scalarIT0_EEPKT2_PKS3_PT3_21rocsparse_index_base_b,comdat
	.globl	_ZN9rocsparseL12axpyi_kernelILj256E21rocsparse_complex_numIfElS2_S2_EEvT1_NS_24const_host_device_scalarIT0_EEPKT2_PKS3_PT3_21rocsparse_index_base_b ; -- Begin function _ZN9rocsparseL12axpyi_kernelILj256E21rocsparse_complex_numIfElS2_S2_EEvT1_NS_24const_host_device_scalarIT0_EEPKT2_PKS3_PT3_21rocsparse_index_base_b
	.p2align	8
	.type	_ZN9rocsparseL12axpyi_kernelILj256E21rocsparse_complex_numIfElS2_S2_EEvT1_NS_24const_host_device_scalarIT0_EEPKT2_PKS3_PT3_21rocsparse_index_base_b,@function
_ZN9rocsparseL12axpyi_kernelILj256E21rocsparse_complex_numIfElS2_S2_EEvT1_NS_24const_host_device_scalarIT0_EEPKT2_PKS3_PT3_21rocsparse_index_base_b: ; @_ZN9rocsparseL12axpyi_kernelILj256E21rocsparse_complex_numIfElS2_S2_EEvT1_NS_24const_host_device_scalarIT0_EEPKT2_PKS3_PT3_21rocsparse_index_base_b
; %bb.0:
	s_load_dwordx2 s[2:3], s[4:5], 0x28
	s_load_dwordx4 s[8:11], s[4:5], 0x0
	s_load_dwordx2 s[0:1], s[4:5], 0x8
	s_waitcnt lgkmcnt(0)
	s_bitcmp1_b32 s3, 0
	s_cselect_b64 s[14:15], -1, 0
	s_xor_b64 s[12:13], s[14:15], -1
	s_and_b64 vcc, exec, s[14:15]
	v_mov_b32_e32 v2, s0
	s_cbranch_vccnz .LBB10_2
; %bb.1:
	v_pk_mov_b32 v[2:3], s[10:11], s[10:11] op_sel:[0,1]
	flat_load_dword v2, v[2:3]
.LBB10_2:
	s_andn2_b64 vcc, exec, s[12:13]
	v_mov_b32_e32 v3, s1
	s_cbranch_vccnz .LBB10_4
; %bb.3:
	v_pk_mov_b32 v[4:5], s[10:11], s[10:11] op_sel:[0,1]
	flat_load_dword v3, v[4:5] offset:4
.LBB10_4:
	s_waitcnt vmcnt(0) lgkmcnt(0)
	v_cmp_neq_f32_e32 vcc, 0, v2
	v_cmp_neq_f32_e64 s[0:1], 0, v3
	v_lshl_or_b32 v0, s6, 8, v0
	v_mov_b32_e32 v1, 0
	s_or_b64 s[0:1], vcc, s[0:1]
	v_cmp_gt_i64_e32 vcc, s[8:9], v[0:1]
	s_and_b64 s[0:1], s[0:1], vcc
	s_and_saveexec_b64 s[6:7], s[0:1]
	s_cbranch_execz .LBB10_6
; %bb.5:
	s_load_dwordx4 s[8:11], s[4:5], 0x10
	s_load_dwordx2 s[0:1], s[4:5], 0x20
	v_lshlrev_b64 v[0:1], 3, v[0:1]
	v_xor_b32_e32 v8, 0x80000000, v3
	v_mov_b32_e32 v9, v2
	s_waitcnt lgkmcnt(0)
	v_mov_b32_e32 v5, s11
	v_add_co_u32_e32 v4, vcc, s10, v0
	v_addc_co_u32_e32 v5, vcc, v5, v1, vcc
	global_load_dwordx2 v[4:5], v[4:5], off
	v_mov_b32_e32 v6, s9
	v_add_co_u32_e32 v0, vcc, s8, v0
	v_addc_co_u32_e32 v1, vcc, v6, v1, vcc
	v_mov_b32_e32 v7, s1
	global_load_dwordx2 v[0:1], v[0:1], off
	s_waitcnt vmcnt(1)
	v_subrev_co_u32_e32 v4, vcc, s2, v4
	v_subbrev_co_u32_e32 v5, vcc, 0, v5, vcc
	v_lshlrev_b64 v[4:5], 3, v[4:5]
	v_add_co_u32_e32 v4, vcc, s0, v4
	v_addc_co_u32_e32 v5, vcc, v7, v5, vcc
	global_load_dwordx2 v[6:7], v[4:5], off
	s_waitcnt vmcnt(0)
	v_pk_fma_f32 v[6:7], v[2:3], v[0:1], v[6:7] op_sel_hi:[1,0,1]
	v_pk_fma_f32 v[0:1], v[8:9], v[0:1], v[6:7] op_sel:[0,1,0]
	global_store_dwordx2 v[4:5], v[0:1], off
.LBB10_6:
	s_endpgm
	.section	.rodata,"a",@progbits
	.p2align	6, 0x0
	.amdhsa_kernel _ZN9rocsparseL12axpyi_kernelILj256E21rocsparse_complex_numIfElS2_S2_EEvT1_NS_24const_host_device_scalarIT0_EEPKT2_PKS3_PT3_21rocsparse_index_base_b
		.amdhsa_group_segment_fixed_size 0
		.amdhsa_private_segment_fixed_size 0
		.amdhsa_kernarg_size 48
		.amdhsa_user_sgpr_count 6
		.amdhsa_user_sgpr_private_segment_buffer 1
		.amdhsa_user_sgpr_dispatch_ptr 0
		.amdhsa_user_sgpr_queue_ptr 0
		.amdhsa_user_sgpr_kernarg_segment_ptr 1
		.amdhsa_user_sgpr_dispatch_id 0
		.amdhsa_user_sgpr_flat_scratch_init 0
		.amdhsa_user_sgpr_kernarg_preload_length 0
		.amdhsa_user_sgpr_kernarg_preload_offset 0
		.amdhsa_user_sgpr_private_segment_size 0
		.amdhsa_uses_dynamic_stack 0
		.amdhsa_system_sgpr_private_segment_wavefront_offset 0
		.amdhsa_system_sgpr_workgroup_id_x 1
		.amdhsa_system_sgpr_workgroup_id_y 0
		.amdhsa_system_sgpr_workgroup_id_z 0
		.amdhsa_system_sgpr_workgroup_info 0
		.amdhsa_system_vgpr_workitem_id 0
		.amdhsa_next_free_vgpr 10
		.amdhsa_next_free_sgpr 16
		.amdhsa_accum_offset 12
		.amdhsa_reserve_vcc 1
		.amdhsa_reserve_flat_scratch 0
		.amdhsa_float_round_mode_32 0
		.amdhsa_float_round_mode_16_64 0
		.amdhsa_float_denorm_mode_32 3
		.amdhsa_float_denorm_mode_16_64 3
		.amdhsa_dx10_clamp 1
		.amdhsa_ieee_mode 1
		.amdhsa_fp16_overflow 0
		.amdhsa_tg_split 0
		.amdhsa_exception_fp_ieee_invalid_op 0
		.amdhsa_exception_fp_denorm_src 0
		.amdhsa_exception_fp_ieee_div_zero 0
		.amdhsa_exception_fp_ieee_overflow 0
		.amdhsa_exception_fp_ieee_underflow 0
		.amdhsa_exception_fp_ieee_inexact 0
		.amdhsa_exception_int_div_zero 0
	.end_amdhsa_kernel
	.section	.text._ZN9rocsparseL12axpyi_kernelILj256E21rocsparse_complex_numIfElS2_S2_EEvT1_NS_24const_host_device_scalarIT0_EEPKT2_PKS3_PT3_21rocsparse_index_base_b,"axG",@progbits,_ZN9rocsparseL12axpyi_kernelILj256E21rocsparse_complex_numIfElS2_S2_EEvT1_NS_24const_host_device_scalarIT0_EEPKT2_PKS3_PT3_21rocsparse_index_base_b,comdat
.Lfunc_end10:
	.size	_ZN9rocsparseL12axpyi_kernelILj256E21rocsparse_complex_numIfElS2_S2_EEvT1_NS_24const_host_device_scalarIT0_EEPKT2_PKS3_PT3_21rocsparse_index_base_b, .Lfunc_end10-_ZN9rocsparseL12axpyi_kernelILj256E21rocsparse_complex_numIfElS2_S2_EEvT1_NS_24const_host_device_scalarIT0_EEPKT2_PKS3_PT3_21rocsparse_index_base_b
                                        ; -- End function
	.section	.AMDGPU.csdata,"",@progbits
; Kernel info:
; codeLenInByte = 296
; NumSgprs: 20
; NumVgprs: 10
; NumAgprs: 0
; TotalNumVgprs: 10
; ScratchSize: 0
; MemoryBound: 0
; FloatMode: 240
; IeeeMode: 1
; LDSByteSize: 0 bytes/workgroup (compile time only)
; SGPRBlocks: 2
; VGPRBlocks: 1
; NumSGPRsForWavesPerEU: 20
; NumVGPRsForWavesPerEU: 10
; AccumOffset: 12
; Occupancy: 8
; WaveLimiterHint : 1
; COMPUTE_PGM_RSRC2:SCRATCH_EN: 0
; COMPUTE_PGM_RSRC2:USER_SGPR: 6
; COMPUTE_PGM_RSRC2:TRAP_HANDLER: 0
; COMPUTE_PGM_RSRC2:TGID_X_EN: 1
; COMPUTE_PGM_RSRC2:TGID_Y_EN: 0
; COMPUTE_PGM_RSRC2:TGID_Z_EN: 0
; COMPUTE_PGM_RSRC2:TIDIG_COMP_CNT: 0
; COMPUTE_PGM_RSRC3_GFX90A:ACCUM_OFFSET: 2
; COMPUTE_PGM_RSRC3_GFX90A:TG_SPLIT: 0
	.section	.text._ZN9rocsparseL12axpyi_kernelILj256E21rocsparse_complex_numIdElS2_S2_EEvT1_NS_24const_host_device_scalarIT0_EEPKT2_PKS3_PT3_21rocsparse_index_base_b,"axG",@progbits,_ZN9rocsparseL12axpyi_kernelILj256E21rocsparse_complex_numIdElS2_S2_EEvT1_NS_24const_host_device_scalarIT0_EEPKT2_PKS3_PT3_21rocsparse_index_base_b,comdat
	.globl	_ZN9rocsparseL12axpyi_kernelILj256E21rocsparse_complex_numIdElS2_S2_EEvT1_NS_24const_host_device_scalarIT0_EEPKT2_PKS3_PT3_21rocsparse_index_base_b ; -- Begin function _ZN9rocsparseL12axpyi_kernelILj256E21rocsparse_complex_numIdElS2_S2_EEvT1_NS_24const_host_device_scalarIT0_EEPKT2_PKS3_PT3_21rocsparse_index_base_b
	.p2align	8
	.type	_ZN9rocsparseL12axpyi_kernelILj256E21rocsparse_complex_numIdElS2_S2_EEvT1_NS_24const_host_device_scalarIT0_EEPKT2_PKS3_PT3_21rocsparse_index_base_b,@function
_ZN9rocsparseL12axpyi_kernelILj256E21rocsparse_complex_numIdElS2_S2_EEvT1_NS_24const_host_device_scalarIT0_EEPKT2_PKS3_PT3_21rocsparse_index_base_b: ; @_ZN9rocsparseL12axpyi_kernelILj256E21rocsparse_complex_numIdElS2_S2_EEvT1_NS_24const_host_device_scalarIT0_EEPKT2_PKS3_PT3_21rocsparse_index_base_b
; %bb.0:
	s_load_dwordx2 s[2:3], s[6:7], 0x30
	s_load_dwordx2 s[0:1], s[4:5], 0x4
	s_load_dwordx4 s[12:15], s[6:7], 0x0
	s_load_dwordx2 s[10:11], s[6:7], 0x10
	v_and_b32_e32 v4, 0x3ff, v0
	s_waitcnt lgkmcnt(0)
	s_and_b32 s3, 1, s3
	s_lshr_b32 s0, s0, 16
	s_mul_i32 s0, s0, s1
	v_mul_lo_u32 v1, s0, v4
	v_bfe_u32 v2, v0, 10, 10
	s_cmp_eq_u32 s3, 1
	v_mad_u32_u24 v1, v2, s1, v1
	v_bfe_u32 v0, v0, 20, 10
	v_add_lshl_u32 v2, v1, v0, 3
	v_pk_mov_b32 v[0:1], s[14:15], s[14:15] op_sel:[0,1]
	s_cselect_b64 vcc, -1, 0
	ds_write_b64 v2, v[0:1]
	s_mov_b64 s[0:1], src_shared_base
	v_cndmask_b32_e32 v0, v0, v2, vcc
	s_and_b64 vcc, vcc, exec
	s_cselect_b32 s0, s1, s15
	v_mov_b32_e32 v1, s0
	flat_load_dwordx2 v[0:1], v[0:1]
	v_pk_mov_b32 v[2:3], s[10:11], s[10:11] op_sel:[0,1]
	s_cbranch_vccnz .LBB11_2
; %bb.1:
	v_pk_mov_b32 v[2:3], s[14:15], s[14:15] op_sel:[0,1]
	flat_load_dwordx2 v[2:3], v[2:3] offset:8
.LBB11_2:
	s_waitcnt vmcnt(0) lgkmcnt(0)
	v_cmp_neq_f64_e32 vcc, 0, v[0:1]
	v_cmp_neq_f64_e64 s[0:1], 0, v[2:3]
	v_lshl_or_b32 v4, s8, 8, v4
	v_mov_b32_e32 v5, 0
	s_or_b64 s[0:1], vcc, s[0:1]
	v_cmp_gt_i64_e32 vcc, s[12:13], v[4:5]
	s_and_b64 s[0:1], s[0:1], vcc
	s_and_saveexec_b64 s[4:5], s[0:1]
	s_cbranch_execz .LBB11_4
; %bb.3:
	s_load_dwordx4 s[8:11], s[6:7], 0x18
	s_load_dwordx2 s[0:1], s[6:7], 0x28
	v_lshlrev_b64 v[6:7], 3, v[4:5]
	v_lshlrev_b64 v[4:5], 4, v[4:5]
	s_waitcnt lgkmcnt(0)
	v_mov_b32_e32 v8, s11
	v_add_co_u32_e32 v6, vcc, s10, v6
	v_addc_co_u32_e32 v7, vcc, v8, v7, vcc
	global_load_dwordx2 v[8:9], v[6:7], off
	v_mov_b32_e32 v6, s9
	v_add_co_u32_e32 v4, vcc, s8, v4
	v_addc_co_u32_e32 v5, vcc, v6, v5, vcc
	v_mov_b32_e32 v10, s1
	global_load_dwordx4 v[4:7], v[4:5], off
	s_waitcnt vmcnt(1)
	v_subrev_co_u32_e32 v8, vcc, s2, v8
	v_subbrev_co_u32_e32 v9, vcc, 0, v9, vcc
	v_lshlrev_b64 v[8:9], 4, v[8:9]
	v_add_co_u32_e32 v12, vcc, s0, v8
	v_addc_co_u32_e32 v13, vcc, v10, v9, vcc
	global_load_dwordx4 v[8:11], v[12:13], off
	s_waitcnt vmcnt(0)
	v_fmac_f64_e32 v[8:9], v[0:1], v[4:5]
	v_fmac_f64_e32 v[10:11], v[2:3], v[4:5]
	v_fma_f64 v[8:9], -v[2:3], v[6:7], v[8:9]
	v_fmac_f64_e32 v[10:11], v[0:1], v[6:7]
	global_store_dwordx4 v[12:13], v[8:11], off
.LBB11_4:
	s_endpgm
	.section	.rodata,"a",@progbits
	.p2align	6, 0x0
	.amdhsa_kernel _ZN9rocsparseL12axpyi_kernelILj256E21rocsparse_complex_numIdElS2_S2_EEvT1_NS_24const_host_device_scalarIT0_EEPKT2_PKS3_PT3_21rocsparse_index_base_b
		.amdhsa_group_segment_fixed_size 2048
		.amdhsa_private_segment_fixed_size 0
		.amdhsa_kernarg_size 56
		.amdhsa_user_sgpr_count 8
		.amdhsa_user_sgpr_private_segment_buffer 1
		.amdhsa_user_sgpr_dispatch_ptr 1
		.amdhsa_user_sgpr_queue_ptr 0
		.amdhsa_user_sgpr_kernarg_segment_ptr 1
		.amdhsa_user_sgpr_dispatch_id 0
		.amdhsa_user_sgpr_flat_scratch_init 0
		.amdhsa_user_sgpr_kernarg_preload_length 0
		.amdhsa_user_sgpr_kernarg_preload_offset 0
		.amdhsa_user_sgpr_private_segment_size 0
		.amdhsa_uses_dynamic_stack 0
		.amdhsa_system_sgpr_private_segment_wavefront_offset 0
		.amdhsa_system_sgpr_workgroup_id_x 1
		.amdhsa_system_sgpr_workgroup_id_y 0
		.amdhsa_system_sgpr_workgroup_id_z 0
		.amdhsa_system_sgpr_workgroup_info 0
		.amdhsa_system_vgpr_workitem_id 2
		.amdhsa_next_free_vgpr 14
		.amdhsa_next_free_sgpr 16
		.amdhsa_accum_offset 16
		.amdhsa_reserve_vcc 1
		.amdhsa_reserve_flat_scratch 0
		.amdhsa_float_round_mode_32 0
		.amdhsa_float_round_mode_16_64 0
		.amdhsa_float_denorm_mode_32 3
		.amdhsa_float_denorm_mode_16_64 3
		.amdhsa_dx10_clamp 1
		.amdhsa_ieee_mode 1
		.amdhsa_fp16_overflow 0
		.amdhsa_tg_split 0
		.amdhsa_exception_fp_ieee_invalid_op 0
		.amdhsa_exception_fp_denorm_src 0
		.amdhsa_exception_fp_ieee_div_zero 0
		.amdhsa_exception_fp_ieee_overflow 0
		.amdhsa_exception_fp_ieee_underflow 0
		.amdhsa_exception_fp_ieee_inexact 0
		.amdhsa_exception_int_div_zero 0
	.end_amdhsa_kernel
	.section	.text._ZN9rocsparseL12axpyi_kernelILj256E21rocsparse_complex_numIdElS2_S2_EEvT1_NS_24const_host_device_scalarIT0_EEPKT2_PKS3_PT3_21rocsparse_index_base_b,"axG",@progbits,_ZN9rocsparseL12axpyi_kernelILj256E21rocsparse_complex_numIdElS2_S2_EEvT1_NS_24const_host_device_scalarIT0_EEPKT2_PKS3_PT3_21rocsparse_index_base_b,comdat
.Lfunc_end11:
	.size	_ZN9rocsparseL12axpyi_kernelILj256E21rocsparse_complex_numIdElS2_S2_EEvT1_NS_24const_host_device_scalarIT0_EEPKT2_PKS3_PT3_21rocsparse_index_base_b, .Lfunc_end11-_ZN9rocsparseL12axpyi_kernelILj256E21rocsparse_complex_numIdElS2_S2_EEvT1_NS_24const_host_device_scalarIT0_EEPKT2_PKS3_PT3_21rocsparse_index_base_b
                                        ; -- End function
	.section	.AMDGPU.csdata,"",@progbits
; Kernel info:
; codeLenInByte = 376
; NumSgprs: 20
; NumVgprs: 14
; NumAgprs: 0
; TotalNumVgprs: 14
; ScratchSize: 0
; MemoryBound: 0
; FloatMode: 240
; IeeeMode: 1
; LDSByteSize: 2048 bytes/workgroup (compile time only)
; SGPRBlocks: 2
; VGPRBlocks: 1
; NumSGPRsForWavesPerEU: 20
; NumVGPRsForWavesPerEU: 14
; AccumOffset: 16
; Occupancy: 8
; WaveLimiterHint : 1
; COMPUTE_PGM_RSRC2:SCRATCH_EN: 0
; COMPUTE_PGM_RSRC2:USER_SGPR: 8
; COMPUTE_PGM_RSRC2:TRAP_HANDLER: 0
; COMPUTE_PGM_RSRC2:TGID_X_EN: 1
; COMPUTE_PGM_RSRC2:TGID_Y_EN: 0
; COMPUTE_PGM_RSRC2:TGID_Z_EN: 0
; COMPUTE_PGM_RSRC2:TIDIG_COMP_CNT: 2
; COMPUTE_PGM_RSRC3_GFX90A:ACCUM_OFFSET: 3
; COMPUTE_PGM_RSRC3_GFX90A:TG_SPLIT: 0
	.text
	.p2alignl 6, 3212836864
	.fill 256, 4, 3212836864
	.type	__hip_cuid_e54a0111f55a5e09,@object ; @__hip_cuid_e54a0111f55a5e09
	.section	.bss,"aw",@nobits
	.globl	__hip_cuid_e54a0111f55a5e09
__hip_cuid_e54a0111f55a5e09:
	.byte	0                               ; 0x0
	.size	__hip_cuid_e54a0111f55a5e09, 1

	.ident	"AMD clang version 19.0.0git (https://github.com/RadeonOpenCompute/llvm-project roc-6.4.0 25133 c7fe45cf4b819c5991fe208aaa96edf142730f1d)"
	.section	".note.GNU-stack","",@progbits
	.addrsig
	.addrsig_sym __hip_cuid_e54a0111f55a5e09
	.amdgpu_metadata
---
amdhsa.kernels:
  - .agpr_count:     0
    .args:
      - .offset:         0
        .size:           4
        .value_kind:     by_value
      - .offset:         8
        .size:           8
        .value_kind:     by_value
      - .actual_access:  read_only
        .address_space:  global
        .offset:         16
        .size:           8
        .value_kind:     global_buffer
      - .actual_access:  read_only
        .address_space:  global
        .offset:         24
        .size:           8
        .value_kind:     global_buffer
      - .address_space:  global
        .offset:         32
        .size:           8
        .value_kind:     global_buffer
      - .offset:         40
        .size:           4
        .value_kind:     by_value
      - .offset:         44
        .size:           1
        .value_kind:     by_value
    .group_segment_fixed_size: 0
    .kernarg_segment_align: 8
    .kernarg_segment_size: 48
    .language:       OpenCL C
    .language_version:
      - 2
      - 0
    .max_flat_workgroup_size: 256
    .name:           _ZN9rocsparseL12axpyi_kernelILj256Efi18rocsparse_bfloat16S1_EEvT1_NS_24const_host_device_scalarIT0_EEPKT2_PKS2_PT3_21rocsparse_index_base_b
    .private_segment_fixed_size: 0
    .sgpr_count:     4
    .sgpr_spill_count: 0
    .symbol:         _ZN9rocsparseL12axpyi_kernelILj256Efi18rocsparse_bfloat16S1_EEvT1_NS_24const_host_device_scalarIT0_EEPKT2_PKS2_PT3_21rocsparse_index_base_b.kd
    .uniform_work_group_size: 1
    .uses_dynamic_stack: false
    .vgpr_count:     0
    .vgpr_spill_count: 0
    .wavefront_size: 64
  - .agpr_count:     0
    .args:
      - .offset:         0
        .size:           4
        .value_kind:     by_value
      - .offset:         8
        .size:           8
        .value_kind:     by_value
      - .actual_access:  read_only
        .address_space:  global
        .offset:         16
        .size:           8
        .value_kind:     global_buffer
      - .actual_access:  read_only
        .address_space:  global
        .offset:         24
        .size:           8
        .value_kind:     global_buffer
      - .address_space:  global
        .offset:         32
        .size:           8
        .value_kind:     global_buffer
      - .offset:         40
        .size:           4
        .value_kind:     by_value
      - .offset:         44
        .size:           1
        .value_kind:     by_value
    .group_segment_fixed_size: 0
    .kernarg_segment_align: 8
    .kernarg_segment_size: 48
    .language:       OpenCL C
    .language_version:
      - 2
      - 0
    .max_flat_workgroup_size: 256
    .name:           _ZN9rocsparseL12axpyi_kernelILj256EfiDF16_DF16_EEvT1_NS_24const_host_device_scalarIT0_EEPKT2_PKS1_PT3_21rocsparse_index_base_b
    .private_segment_fixed_size: 0
    .sgpr_count:     16
    .sgpr_spill_count: 0
    .symbol:         _ZN9rocsparseL12axpyi_kernelILj256EfiDF16_DF16_EEvT1_NS_24const_host_device_scalarIT0_EEPKT2_PKS1_PT3_21rocsparse_index_base_b.kd
    .uniform_work_group_size: 1
    .uses_dynamic_stack: false
    .vgpr_count:     5
    .vgpr_spill_count: 0
    .wavefront_size: 64
  - .agpr_count:     0
    .args:
      - .offset:         0
        .size:           4
        .value_kind:     by_value
      - .offset:         8
        .size:           8
        .value_kind:     by_value
      - .actual_access:  read_only
        .address_space:  global
        .offset:         16
        .size:           8
        .value_kind:     global_buffer
      - .actual_access:  read_only
        .address_space:  global
        .offset:         24
        .size:           8
        .value_kind:     global_buffer
      - .address_space:  global
        .offset:         32
        .size:           8
        .value_kind:     global_buffer
      - .offset:         40
        .size:           4
        .value_kind:     by_value
      - .offset:         44
        .size:           1
        .value_kind:     by_value
    .group_segment_fixed_size: 0
    .kernarg_segment_align: 8
    .kernarg_segment_size: 48
    .language:       OpenCL C
    .language_version:
      - 2
      - 0
    .max_flat_workgroup_size: 256
    .name:           _ZN9rocsparseL12axpyi_kernelILj256EfiffEEvT1_NS_24const_host_device_scalarIT0_EEPKT2_PKS1_PT3_21rocsparse_index_base_b
    .private_segment_fixed_size: 0
    .sgpr_count:     16
    .sgpr_spill_count: 0
    .symbol:         _ZN9rocsparseL12axpyi_kernelILj256EfiffEEvT1_NS_24const_host_device_scalarIT0_EEPKT2_PKS1_PT3_21rocsparse_index_base_b.kd
    .uniform_work_group_size: 1
    .uses_dynamic_stack: false
    .vgpr_count:     5
    .vgpr_spill_count: 0
    .wavefront_size: 64
  - .agpr_count:     0
    .args:
      - .offset:         0
        .size:           4
        .value_kind:     by_value
      - .offset:         8
        .size:           8
        .value_kind:     by_value
      - .actual_access:  read_only
        .address_space:  global
        .offset:         16
        .size:           8
        .value_kind:     global_buffer
      - .actual_access:  read_only
        .address_space:  global
        .offset:         24
        .size:           8
        .value_kind:     global_buffer
      - .address_space:  global
        .offset:         32
        .size:           8
        .value_kind:     global_buffer
      - .offset:         40
        .size:           4
        .value_kind:     by_value
      - .offset:         44
        .size:           1
        .value_kind:     by_value
    .group_segment_fixed_size: 0
    .kernarg_segment_align: 8
    .kernarg_segment_size: 48
    .language:       OpenCL C
    .language_version:
      - 2
      - 0
    .max_flat_workgroup_size: 256
    .name:           _ZN9rocsparseL12axpyi_kernelILj256EdiddEEvT1_NS_24const_host_device_scalarIT0_EEPKT2_PKS1_PT3_21rocsparse_index_base_b
    .private_segment_fixed_size: 0
    .sgpr_count:     16
    .sgpr_spill_count: 0
    .symbol:         _ZN9rocsparseL12axpyi_kernelILj256EdiddEEvT1_NS_24const_host_device_scalarIT0_EEPKT2_PKS1_PT3_21rocsparse_index_base_b.kd
    .uniform_work_group_size: 1
    .uses_dynamic_stack: false
    .vgpr_count:     8
    .vgpr_spill_count: 0
    .wavefront_size: 64
  - .agpr_count:     0
    .args:
      - .offset:         0
        .size:           4
        .value_kind:     by_value
      - .offset:         8
        .size:           8
        .value_kind:     by_value
      - .actual_access:  read_only
        .address_space:  global
        .offset:         16
        .size:           8
        .value_kind:     global_buffer
      - .actual_access:  read_only
        .address_space:  global
        .offset:         24
        .size:           8
        .value_kind:     global_buffer
      - .address_space:  global
        .offset:         32
        .size:           8
        .value_kind:     global_buffer
      - .offset:         40
        .size:           4
        .value_kind:     by_value
      - .offset:         44
        .size:           1
        .value_kind:     by_value
    .group_segment_fixed_size: 0
    .kernarg_segment_align: 8
    .kernarg_segment_size: 48
    .language:       OpenCL C
    .language_version:
      - 2
      - 0
    .max_flat_workgroup_size: 256
    .name:           _ZN9rocsparseL12axpyi_kernelILj256E21rocsparse_complex_numIfEiS2_S2_EEvT1_NS_24const_host_device_scalarIT0_EEPKT2_PKS3_PT3_21rocsparse_index_base_b
    .private_segment_fixed_size: 0
    .sgpr_count:     16
    .sgpr_spill_count: 0
    .symbol:         _ZN9rocsparseL12axpyi_kernelILj256E21rocsparse_complex_numIfEiS2_S2_EEvT1_NS_24const_host_device_scalarIT0_EEPKT2_PKS3_PT3_21rocsparse_index_base_b.kd
    .uniform_work_group_size: 1
    .uses_dynamic_stack: false
    .vgpr_count:     10
    .vgpr_spill_count: 0
    .wavefront_size: 64
  - .agpr_count:     0
    .args:
      - .offset:         0
        .size:           4
        .value_kind:     by_value
      - .offset:         8
        .size:           16
        .value_kind:     by_value
      - .actual_access:  read_only
        .address_space:  global
        .offset:         24
        .size:           8
        .value_kind:     global_buffer
      - .actual_access:  read_only
        .address_space:  global
        .offset:         32
        .size:           8
        .value_kind:     global_buffer
      - .address_space:  global
        .offset:         40
        .size:           8
        .value_kind:     global_buffer
      - .offset:         48
        .size:           4
        .value_kind:     by_value
      - .offset:         52
        .size:           1
        .value_kind:     by_value
    .group_segment_fixed_size: 2048
    .kernarg_segment_align: 8
    .kernarg_segment_size: 56
    .language:       OpenCL C
    .language_version:
      - 2
      - 0
    .max_flat_workgroup_size: 256
    .name:           _ZN9rocsparseL12axpyi_kernelILj256E21rocsparse_complex_numIdEiS2_S2_EEvT1_NS_24const_host_device_scalarIT0_EEPKT2_PKS3_PT3_21rocsparse_index_base_b
    .private_segment_fixed_size: 0
    .sgpr_count:     18
    .sgpr_spill_count: 0
    .symbol:         _ZN9rocsparseL12axpyi_kernelILj256E21rocsparse_complex_numIdEiS2_S2_EEvT1_NS_24const_host_device_scalarIT0_EEPKT2_PKS3_PT3_21rocsparse_index_base_b.kd
    .uniform_work_group_size: 1
    .uses_dynamic_stack: false
    .vgpr_count:     14
    .vgpr_spill_count: 0
    .wavefront_size: 64
  - .agpr_count:     0
    .args:
      - .offset:         0
        .size:           8
        .value_kind:     by_value
      - .offset:         8
        .size:           8
        .value_kind:     by_value
      - .actual_access:  read_only
        .address_space:  global
        .offset:         16
        .size:           8
        .value_kind:     global_buffer
      - .actual_access:  read_only
        .address_space:  global
        .offset:         24
        .size:           8
        .value_kind:     global_buffer
      - .address_space:  global
        .offset:         32
        .size:           8
        .value_kind:     global_buffer
      - .offset:         40
        .size:           4
        .value_kind:     by_value
      - .offset:         44
        .size:           1
        .value_kind:     by_value
    .group_segment_fixed_size: 0
    .kernarg_segment_align: 8
    .kernarg_segment_size: 48
    .language:       OpenCL C
    .language_version:
      - 2
      - 0
    .max_flat_workgroup_size: 256
    .name:           _ZN9rocsparseL12axpyi_kernelILj256Efl18rocsparse_bfloat16S1_EEvT1_NS_24const_host_device_scalarIT0_EEPKT2_PKS2_PT3_21rocsparse_index_base_b
    .private_segment_fixed_size: 0
    .sgpr_count:     4
    .sgpr_spill_count: 0
    .symbol:         _ZN9rocsparseL12axpyi_kernelILj256Efl18rocsparse_bfloat16S1_EEvT1_NS_24const_host_device_scalarIT0_EEPKT2_PKS2_PT3_21rocsparse_index_base_b.kd
    .uniform_work_group_size: 1
    .uses_dynamic_stack: false
    .vgpr_count:     0
    .vgpr_spill_count: 0
    .wavefront_size: 64
  - .agpr_count:     0
    .args:
      - .offset:         0
        .size:           8
        .value_kind:     by_value
      - .offset:         8
        .size:           8
        .value_kind:     by_value
      - .actual_access:  read_only
        .address_space:  global
        .offset:         16
        .size:           8
        .value_kind:     global_buffer
      - .actual_access:  read_only
        .address_space:  global
        .offset:         24
        .size:           8
        .value_kind:     global_buffer
      - .address_space:  global
        .offset:         32
        .size:           8
        .value_kind:     global_buffer
      - .offset:         40
        .size:           4
        .value_kind:     by_value
      - .offset:         44
        .size:           1
        .value_kind:     by_value
    .group_segment_fixed_size: 0
    .kernarg_segment_align: 8
    .kernarg_segment_size: 48
    .language:       OpenCL C
    .language_version:
      - 2
      - 0
    .max_flat_workgroup_size: 256
    .name:           _ZN9rocsparseL12axpyi_kernelILj256EflDF16_DF16_EEvT1_NS_24const_host_device_scalarIT0_EEPKT2_PKS1_PT3_21rocsparse_index_base_b
    .private_segment_fixed_size: 0
    .sgpr_count:     20
    .sgpr_spill_count: 0
    .symbol:         _ZN9rocsparseL12axpyi_kernelILj256EflDF16_DF16_EEvT1_NS_24const_host_device_scalarIT0_EEPKT2_PKS1_PT3_21rocsparse_index_base_b.kd
    .uniform_work_group_size: 1
    .uses_dynamic_stack: false
    .vgpr_count:     6
    .vgpr_spill_count: 0
    .wavefront_size: 64
  - .agpr_count:     0
    .args:
      - .offset:         0
        .size:           8
        .value_kind:     by_value
      - .offset:         8
        .size:           8
        .value_kind:     by_value
      - .actual_access:  read_only
        .address_space:  global
        .offset:         16
        .size:           8
        .value_kind:     global_buffer
      - .actual_access:  read_only
        .address_space:  global
        .offset:         24
        .size:           8
        .value_kind:     global_buffer
      - .address_space:  global
        .offset:         32
        .size:           8
        .value_kind:     global_buffer
      - .offset:         40
        .size:           4
        .value_kind:     by_value
      - .offset:         44
        .size:           1
        .value_kind:     by_value
    .group_segment_fixed_size: 0
    .kernarg_segment_align: 8
    .kernarg_segment_size: 48
    .language:       OpenCL C
    .language_version:
      - 2
      - 0
    .max_flat_workgroup_size: 256
    .name:           _ZN9rocsparseL12axpyi_kernelILj256EflffEEvT1_NS_24const_host_device_scalarIT0_EEPKT2_PKS1_PT3_21rocsparse_index_base_b
    .private_segment_fixed_size: 0
    .sgpr_count:     20
    .sgpr_spill_count: 0
    .symbol:         _ZN9rocsparseL12axpyi_kernelILj256EflffEEvT1_NS_24const_host_device_scalarIT0_EEPKT2_PKS1_PT3_21rocsparse_index_base_b.kd
    .uniform_work_group_size: 1
    .uses_dynamic_stack: false
    .vgpr_count:     6
    .vgpr_spill_count: 0
    .wavefront_size: 64
  - .agpr_count:     0
    .args:
      - .offset:         0
        .size:           8
        .value_kind:     by_value
      - .offset:         8
        .size:           8
        .value_kind:     by_value
      - .actual_access:  read_only
        .address_space:  global
        .offset:         16
        .size:           8
        .value_kind:     global_buffer
      - .actual_access:  read_only
        .address_space:  global
        .offset:         24
        .size:           8
        .value_kind:     global_buffer
      - .address_space:  global
        .offset:         32
        .size:           8
        .value_kind:     global_buffer
      - .offset:         40
        .size:           4
        .value_kind:     by_value
      - .offset:         44
        .size:           1
        .value_kind:     by_value
    .group_segment_fixed_size: 0
    .kernarg_segment_align: 8
    .kernarg_segment_size: 48
    .language:       OpenCL C
    .language_version:
      - 2
      - 0
    .max_flat_workgroup_size: 256
    .name:           _ZN9rocsparseL12axpyi_kernelILj256EdlddEEvT1_NS_24const_host_device_scalarIT0_EEPKT2_PKS1_PT3_21rocsparse_index_base_b
    .private_segment_fixed_size: 0
    .sgpr_count:     16
    .sgpr_spill_count: 0
    .symbol:         _ZN9rocsparseL12axpyi_kernelILj256EdlddEEvT1_NS_24const_host_device_scalarIT0_EEPKT2_PKS1_PT3_21rocsparse_index_base_b.kd
    .uniform_work_group_size: 1
    .uses_dynamic_stack: false
    .vgpr_count:     8
    .vgpr_spill_count: 0
    .wavefront_size: 64
  - .agpr_count:     0
    .args:
      - .offset:         0
        .size:           8
        .value_kind:     by_value
      - .offset:         8
        .size:           8
        .value_kind:     by_value
      - .actual_access:  read_only
        .address_space:  global
        .offset:         16
        .size:           8
        .value_kind:     global_buffer
      - .actual_access:  read_only
        .address_space:  global
        .offset:         24
        .size:           8
        .value_kind:     global_buffer
      - .address_space:  global
        .offset:         32
        .size:           8
        .value_kind:     global_buffer
      - .offset:         40
        .size:           4
        .value_kind:     by_value
      - .offset:         44
        .size:           1
        .value_kind:     by_value
    .group_segment_fixed_size: 0
    .kernarg_segment_align: 8
    .kernarg_segment_size: 48
    .language:       OpenCL C
    .language_version:
      - 2
      - 0
    .max_flat_workgroup_size: 256
    .name:           _ZN9rocsparseL12axpyi_kernelILj256E21rocsparse_complex_numIfElS2_S2_EEvT1_NS_24const_host_device_scalarIT0_EEPKT2_PKS3_PT3_21rocsparse_index_base_b
    .private_segment_fixed_size: 0
    .sgpr_count:     20
    .sgpr_spill_count: 0
    .symbol:         _ZN9rocsparseL12axpyi_kernelILj256E21rocsparse_complex_numIfElS2_S2_EEvT1_NS_24const_host_device_scalarIT0_EEPKT2_PKS3_PT3_21rocsparse_index_base_b.kd
    .uniform_work_group_size: 1
    .uses_dynamic_stack: false
    .vgpr_count:     10
    .vgpr_spill_count: 0
    .wavefront_size: 64
  - .agpr_count:     0
    .args:
      - .offset:         0
        .size:           8
        .value_kind:     by_value
      - .offset:         8
        .size:           16
        .value_kind:     by_value
      - .actual_access:  read_only
        .address_space:  global
        .offset:         24
        .size:           8
        .value_kind:     global_buffer
      - .actual_access:  read_only
        .address_space:  global
        .offset:         32
        .size:           8
        .value_kind:     global_buffer
      - .address_space:  global
        .offset:         40
        .size:           8
        .value_kind:     global_buffer
      - .offset:         48
        .size:           4
        .value_kind:     by_value
      - .offset:         52
        .size:           1
        .value_kind:     by_value
    .group_segment_fixed_size: 2048
    .kernarg_segment_align: 8
    .kernarg_segment_size: 56
    .language:       OpenCL C
    .language_version:
      - 2
      - 0
    .max_flat_workgroup_size: 256
    .name:           _ZN9rocsparseL12axpyi_kernelILj256E21rocsparse_complex_numIdElS2_S2_EEvT1_NS_24const_host_device_scalarIT0_EEPKT2_PKS3_PT3_21rocsparse_index_base_b
    .private_segment_fixed_size: 0
    .sgpr_count:     20
    .sgpr_spill_count: 0
    .symbol:         _ZN9rocsparseL12axpyi_kernelILj256E21rocsparse_complex_numIdElS2_S2_EEvT1_NS_24const_host_device_scalarIT0_EEPKT2_PKS3_PT3_21rocsparse_index_base_b.kd
    .uniform_work_group_size: 1
    .uses_dynamic_stack: false
    .vgpr_count:     14
    .vgpr_spill_count: 0
    .wavefront_size: 64
amdhsa.target:   amdgcn-amd-amdhsa--gfx90a
amdhsa.version:
  - 1
  - 2
...

	.end_amdgpu_metadata
